;; amdgpu-corpus repo=ROCm/rocFFT kind=compiled arch=gfx1201 opt=O3
	.text
	.amdgcn_target "amdgcn-amd-amdhsa--gfx1201"
	.amdhsa_code_object_version 6
	.protected	fft_rtc_fwd_len2430_factors_10_3_3_3_3_3_wgs_81_tpt_81_halfLds_half_ip_CI_unitstride_sbrr_R2C_dirReg ; -- Begin function fft_rtc_fwd_len2430_factors_10_3_3_3_3_3_wgs_81_tpt_81_halfLds_half_ip_CI_unitstride_sbrr_R2C_dirReg
	.globl	fft_rtc_fwd_len2430_factors_10_3_3_3_3_3_wgs_81_tpt_81_halfLds_half_ip_CI_unitstride_sbrr_R2C_dirReg
	.p2align	8
	.type	fft_rtc_fwd_len2430_factors_10_3_3_3_3_3_wgs_81_tpt_81_halfLds_half_ip_CI_unitstride_sbrr_R2C_dirReg,@function
fft_rtc_fwd_len2430_factors_10_3_3_3_3_3_wgs_81_tpt_81_halfLds_half_ip_CI_unitstride_sbrr_R2C_dirReg: ; @fft_rtc_fwd_len2430_factors_10_3_3_3_3_3_wgs_81_tpt_81_halfLds_half_ip_CI_unitstride_sbrr_R2C_dirReg
; %bb.0:
	s_clause 0x2
	s_load_b128 s[4:7], s[0:1], 0x0
	s_load_b64 s[8:9], s[0:1], 0x50
	s_load_b64 s[10:11], s[0:1], 0x18
	v_mul_u32_u24_e32 v1, 0x32a, v0
	v_mov_b32_e32 v3, 0
	s_delay_alu instid0(VALU_DEP_2) | instskip(NEXT) | instid1(VALU_DEP_1)
	v_lshrrev_b32_e32 v1, 16, v1
	v_add_nc_u32_e32 v5, ttmp9, v1
	v_mov_b32_e32 v1, 0
	v_mov_b32_e32 v2, 0
	;; [unrolled: 1-line block ×3, first 2 shown]
	s_wait_kmcnt 0x0
	v_cmp_lt_u64_e64 s2, s[6:7], 2
	s_delay_alu instid0(VALU_DEP_1)
	s_and_b32 vcc_lo, exec_lo, s2
	s_cbranch_vccnz .LBB0_8
; %bb.1:
	s_load_b64 s[2:3], s[0:1], 0x10
	v_mov_b32_e32 v1, 0
	v_mov_b32_e32 v2, 0
	s_add_nc_u64 s[12:13], s[10:11], 8
	s_mov_b64 s[14:15], 1
	s_wait_kmcnt 0x0
	s_add_nc_u64 s[16:17], s[2:3], 8
	s_mov_b32 s3, 0
.LBB0_2:                                ; =>This Inner Loop Header: Depth=1
	s_load_b64 s[18:19], s[16:17], 0x0
                                        ; implicit-def: $vgpr14_vgpr15
	s_mov_b32 s2, exec_lo
	s_wait_kmcnt 0x0
	v_or_b32_e32 v4, s19, v6
	s_delay_alu instid0(VALU_DEP_1)
	v_cmpx_ne_u64_e32 0, v[3:4]
	s_wait_alu 0xfffe
	s_xor_b32 s20, exec_lo, s2
	s_cbranch_execz .LBB0_4
; %bb.3:                                ;   in Loop: Header=BB0_2 Depth=1
	s_cvt_f32_u32 s2, s18
	s_cvt_f32_u32 s21, s19
	s_sub_nc_u64 s[24:25], 0, s[18:19]
	s_wait_alu 0xfffe
	s_delay_alu instid0(SALU_CYCLE_1) | instskip(SKIP_1) | instid1(SALU_CYCLE_2)
	s_fmamk_f32 s2, s21, 0x4f800000, s2
	s_wait_alu 0xfffe
	v_s_rcp_f32 s2, s2
	s_delay_alu instid0(TRANS32_DEP_1) | instskip(SKIP_1) | instid1(SALU_CYCLE_2)
	s_mul_f32 s2, s2, 0x5f7ffffc
	s_wait_alu 0xfffe
	s_mul_f32 s21, s2, 0x2f800000
	s_wait_alu 0xfffe
	s_delay_alu instid0(SALU_CYCLE_2) | instskip(SKIP_1) | instid1(SALU_CYCLE_2)
	s_trunc_f32 s21, s21
	s_wait_alu 0xfffe
	s_fmamk_f32 s2, s21, 0xcf800000, s2
	s_cvt_u32_f32 s23, s21
	s_wait_alu 0xfffe
	s_delay_alu instid0(SALU_CYCLE_1) | instskip(SKIP_1) | instid1(SALU_CYCLE_2)
	s_cvt_u32_f32 s22, s2
	s_wait_alu 0xfffe
	s_mul_u64 s[26:27], s[24:25], s[22:23]
	s_wait_alu 0xfffe
	s_mul_hi_u32 s29, s22, s27
	s_mul_i32 s28, s22, s27
	s_mul_hi_u32 s2, s22, s26
	s_mul_i32 s30, s23, s26
	s_wait_alu 0xfffe
	s_add_nc_u64 s[28:29], s[2:3], s[28:29]
	s_mul_hi_u32 s21, s23, s26
	s_mul_hi_u32 s31, s23, s27
	s_add_co_u32 s2, s28, s30
	s_wait_alu 0xfffe
	s_add_co_ci_u32 s2, s29, s21
	s_mul_i32 s26, s23, s27
	s_add_co_ci_u32 s27, s31, 0
	s_wait_alu 0xfffe
	s_add_nc_u64 s[26:27], s[2:3], s[26:27]
	s_wait_alu 0xfffe
	v_add_co_u32 v4, s2, s22, s26
	s_delay_alu instid0(VALU_DEP_1) | instskip(SKIP_1) | instid1(VALU_DEP_1)
	s_cmp_lg_u32 s2, 0
	s_add_co_ci_u32 s23, s23, s27
	v_readfirstlane_b32 s22, v4
	s_wait_alu 0xfffe
	s_delay_alu instid0(VALU_DEP_1)
	s_mul_u64 s[24:25], s[24:25], s[22:23]
	s_wait_alu 0xfffe
	s_mul_hi_u32 s27, s22, s25
	s_mul_i32 s26, s22, s25
	s_mul_hi_u32 s2, s22, s24
	s_mul_i32 s28, s23, s24
	s_wait_alu 0xfffe
	s_add_nc_u64 s[26:27], s[2:3], s[26:27]
	s_mul_hi_u32 s21, s23, s24
	s_mul_hi_u32 s22, s23, s25
	s_wait_alu 0xfffe
	s_add_co_u32 s2, s26, s28
	s_add_co_ci_u32 s2, s27, s21
	s_mul_i32 s24, s23, s25
	s_add_co_ci_u32 s25, s22, 0
	s_wait_alu 0xfffe
	s_add_nc_u64 s[24:25], s[2:3], s[24:25]
	s_wait_alu 0xfffe
	v_add_co_u32 v4, s2, v4, s24
	s_delay_alu instid0(VALU_DEP_1) | instskip(SKIP_1) | instid1(VALU_DEP_1)
	s_cmp_lg_u32 s2, 0
	s_add_co_ci_u32 s2, s23, s25
	v_mul_hi_u32 v13, v5, v4
	s_wait_alu 0xfffe
	v_mad_co_u64_u32 v[7:8], null, v5, s2, 0
	v_mad_co_u64_u32 v[9:10], null, v6, v4, 0
	;; [unrolled: 1-line block ×3, first 2 shown]
	s_delay_alu instid0(VALU_DEP_3) | instskip(SKIP_1) | instid1(VALU_DEP_4)
	v_add_co_u32 v4, vcc_lo, v13, v7
	s_wait_alu 0xfffd
	v_add_co_ci_u32_e32 v7, vcc_lo, 0, v8, vcc_lo
	s_delay_alu instid0(VALU_DEP_2) | instskip(SKIP_1) | instid1(VALU_DEP_2)
	v_add_co_u32 v4, vcc_lo, v4, v9
	s_wait_alu 0xfffd
	v_add_co_ci_u32_e32 v4, vcc_lo, v7, v10, vcc_lo
	s_wait_alu 0xfffd
	v_add_co_ci_u32_e32 v7, vcc_lo, 0, v12, vcc_lo
	s_delay_alu instid0(VALU_DEP_2) | instskip(SKIP_1) | instid1(VALU_DEP_2)
	v_add_co_u32 v4, vcc_lo, v4, v11
	s_wait_alu 0xfffd
	v_add_co_ci_u32_e32 v9, vcc_lo, 0, v7, vcc_lo
	s_delay_alu instid0(VALU_DEP_2) | instskip(SKIP_1) | instid1(VALU_DEP_3)
	v_mul_lo_u32 v10, s19, v4
	v_mad_co_u64_u32 v[7:8], null, s18, v4, 0
	v_mul_lo_u32 v11, s18, v9
	s_delay_alu instid0(VALU_DEP_2) | instskip(NEXT) | instid1(VALU_DEP_2)
	v_sub_co_u32 v7, vcc_lo, v5, v7
	v_add3_u32 v8, v8, v11, v10
	s_delay_alu instid0(VALU_DEP_1) | instskip(SKIP_1) | instid1(VALU_DEP_1)
	v_sub_nc_u32_e32 v10, v6, v8
	s_wait_alu 0xfffd
	v_subrev_co_ci_u32_e64 v10, s2, s19, v10, vcc_lo
	v_add_co_u32 v11, s2, v4, 2
	s_wait_alu 0xf1ff
	v_add_co_ci_u32_e64 v12, s2, 0, v9, s2
	v_sub_co_u32 v13, s2, v7, s18
	v_sub_co_ci_u32_e32 v8, vcc_lo, v6, v8, vcc_lo
	s_wait_alu 0xf1ff
	v_subrev_co_ci_u32_e64 v10, s2, 0, v10, s2
	s_delay_alu instid0(VALU_DEP_3) | instskip(NEXT) | instid1(VALU_DEP_3)
	v_cmp_le_u32_e32 vcc_lo, s18, v13
	v_cmp_eq_u32_e64 s2, s19, v8
	s_wait_alu 0xfffd
	v_cndmask_b32_e64 v13, 0, -1, vcc_lo
	v_cmp_le_u32_e32 vcc_lo, s19, v10
	s_wait_alu 0xfffd
	v_cndmask_b32_e64 v14, 0, -1, vcc_lo
	v_cmp_le_u32_e32 vcc_lo, s18, v7
	;; [unrolled: 3-line block ×3, first 2 shown]
	s_wait_alu 0xfffd
	v_cndmask_b32_e64 v15, 0, -1, vcc_lo
	v_cmp_eq_u32_e32 vcc_lo, s19, v10
	s_wait_alu 0xf1ff
	s_delay_alu instid0(VALU_DEP_2)
	v_cndmask_b32_e64 v7, v15, v7, s2
	s_wait_alu 0xfffd
	v_cndmask_b32_e32 v10, v14, v13, vcc_lo
	v_add_co_u32 v13, vcc_lo, v4, 1
	s_wait_alu 0xfffd
	v_add_co_ci_u32_e32 v14, vcc_lo, 0, v9, vcc_lo
	s_delay_alu instid0(VALU_DEP_3) | instskip(SKIP_1) | instid1(VALU_DEP_2)
	v_cmp_ne_u32_e32 vcc_lo, 0, v10
	s_wait_alu 0xfffd
	v_cndmask_b32_e32 v8, v14, v12, vcc_lo
	v_cndmask_b32_e32 v10, v13, v11, vcc_lo
	v_cmp_ne_u32_e32 vcc_lo, 0, v7
	s_wait_alu 0xfffd
	s_delay_alu instid0(VALU_DEP_2)
	v_dual_cndmask_b32 v15, v9, v8 :: v_dual_cndmask_b32 v14, v4, v10
.LBB0_4:                                ;   in Loop: Header=BB0_2 Depth=1
	s_wait_alu 0xfffe
	s_and_not1_saveexec_b32 s2, s20
	s_cbranch_execz .LBB0_6
; %bb.5:                                ;   in Loop: Header=BB0_2 Depth=1
	v_cvt_f32_u32_e32 v4, s18
	s_sub_co_i32 s20, 0, s18
	v_mov_b32_e32 v15, v3
	s_delay_alu instid0(VALU_DEP_2) | instskip(NEXT) | instid1(TRANS32_DEP_1)
	v_rcp_iflag_f32_e32 v4, v4
	v_mul_f32_e32 v4, 0x4f7ffffe, v4
	s_delay_alu instid0(VALU_DEP_1) | instskip(SKIP_1) | instid1(VALU_DEP_1)
	v_cvt_u32_f32_e32 v4, v4
	s_wait_alu 0xfffe
	v_mul_lo_u32 v7, s20, v4
	s_delay_alu instid0(VALU_DEP_1) | instskip(NEXT) | instid1(VALU_DEP_1)
	v_mul_hi_u32 v7, v4, v7
	v_add_nc_u32_e32 v4, v4, v7
	s_delay_alu instid0(VALU_DEP_1) | instskip(NEXT) | instid1(VALU_DEP_1)
	v_mul_hi_u32 v4, v5, v4
	v_mul_lo_u32 v7, v4, s18
	v_add_nc_u32_e32 v8, 1, v4
	s_delay_alu instid0(VALU_DEP_2) | instskip(NEXT) | instid1(VALU_DEP_1)
	v_sub_nc_u32_e32 v7, v5, v7
	v_subrev_nc_u32_e32 v9, s18, v7
	v_cmp_le_u32_e32 vcc_lo, s18, v7
	s_wait_alu 0xfffd
	s_delay_alu instid0(VALU_DEP_2) | instskip(NEXT) | instid1(VALU_DEP_1)
	v_dual_cndmask_b32 v7, v7, v9 :: v_dual_cndmask_b32 v4, v4, v8
	v_cmp_le_u32_e32 vcc_lo, s18, v7
	s_delay_alu instid0(VALU_DEP_2) | instskip(SKIP_1) | instid1(VALU_DEP_1)
	v_add_nc_u32_e32 v8, 1, v4
	s_wait_alu 0xfffd
	v_cndmask_b32_e32 v14, v4, v8, vcc_lo
.LBB0_6:                                ;   in Loop: Header=BB0_2 Depth=1
	s_wait_alu 0xfffe
	s_or_b32 exec_lo, exec_lo, s2
	s_load_b64 s[20:21], s[12:13], 0x0
	v_mul_lo_u32 v4, v15, s18
	v_mul_lo_u32 v9, v14, s19
	v_mad_co_u64_u32 v[7:8], null, v14, s18, 0
	s_add_nc_u64 s[14:15], s[14:15], 1
	s_add_nc_u64 s[12:13], s[12:13], 8
	s_wait_alu 0xfffe
	v_cmp_ge_u64_e64 s2, s[14:15], s[6:7]
	s_add_nc_u64 s[16:17], s[16:17], 8
	s_delay_alu instid0(VALU_DEP_2) | instskip(NEXT) | instid1(VALU_DEP_3)
	v_add3_u32 v4, v8, v9, v4
	v_sub_co_u32 v5, vcc_lo, v5, v7
	s_wait_alu 0xfffd
	s_delay_alu instid0(VALU_DEP_2) | instskip(SKIP_3) | instid1(VALU_DEP_2)
	v_sub_co_ci_u32_e32 v4, vcc_lo, v6, v4, vcc_lo
	s_and_b32 vcc_lo, exec_lo, s2
	s_wait_kmcnt 0x0
	v_mul_lo_u32 v6, s21, v5
	v_mul_lo_u32 v4, s20, v4
	v_mad_co_u64_u32 v[1:2], null, s20, v5, v[1:2]
	s_delay_alu instid0(VALU_DEP_1)
	v_add3_u32 v2, v6, v2, v4
	s_wait_alu 0xfffe
	s_cbranch_vccnz .LBB0_9
; %bb.7:                                ;   in Loop: Header=BB0_2 Depth=1
	v_dual_mov_b32 v5, v14 :: v_dual_mov_b32 v6, v15
	s_branch .LBB0_2
.LBB0_8:
	v_dual_mov_b32 v15, v6 :: v_dual_mov_b32 v14, v5
.LBB0_9:
	s_lshl_b64 s[2:3], s[6:7], 3
	v_mul_hi_u32 v3, 0x3291620, v0
	s_wait_alu 0xfffe
	s_add_nc_u64 s[2:3], s[10:11], s[2:3]
	s_load_b64 s[0:1], s[0:1], 0x20
	s_load_b64 s[2:3], s[2:3], 0x0
	s_delay_alu instid0(VALU_DEP_1) | instskip(NEXT) | instid1(VALU_DEP_1)
	v_mul_u32_u24_e32 v3, 0x51, v3
	v_sub_nc_u32_e32 v0, v0, v3
	s_delay_alu instid0(VALU_DEP_1)
	v_add_nc_u32_e32 v5, 0x51, v0
	v_add_nc_u32_e32 v13, 0xa2, v0
	;; [unrolled: 1-line block ×4, first 2 shown]
	s_wait_kmcnt 0x0
	v_cmp_gt_u64_e32 vcc_lo, s[0:1], v[14:15]
	v_mul_lo_u32 v3, s2, v15
	v_mul_lo_u32 v4, s3, v14
	v_mad_co_u64_u32 v[1:2], null, s2, v14, v[1:2]
	v_cmp_le_u64_e64 s0, s[0:1], v[14:15]
	v_add_nc_u32_e32 v10, 0x195, v0
	v_add_nc_u32_e32 v9, 0x1e6, v0
	;; [unrolled: 1-line block ×4, first 2 shown]
	v_add3_u32 v2, v4, v2, v3
	v_add_nc_u32_e32 v4, 0x2d9, v0
	s_and_saveexec_b32 s1, s0
	s_wait_alu 0xfffe
	s_xor_b32 s0, exec_lo, s1
; %bb.10:
	v_add_nc_u32_e32 v5, 0x51, v0
	v_add_nc_u32_e32 v13, 0xa2, v0
	;; [unrolled: 1-line block ×9, first 2 shown]
; %bb.11:
	s_wait_alu 0xfffe
	s_or_saveexec_b32 s1, s0
	v_lshlrev_b64_e32 v[2:3], 2, v[1:2]
	s_wait_alu 0xfffe
	s_xor_b32 exec_lo, exec_lo, s1
	s_cbranch_execz .LBB0_13
; %bb.12:
	v_mov_b32_e32 v1, 0
	s_delay_alu instid0(VALU_DEP_1) | instskip(SKIP_3) | instid1(VALU_DEP_2)
	v_lshlrev_b64_e32 v[14:15], 2, v[0:1]
	v_add_co_u32 v1, s0, s8, v2
	s_wait_alu 0xf1ff
	v_add_co_ci_u32_e64 v6, s0, s9, v3, s0
	v_add_co_u32 v14, s0, v1, v14
	s_wait_alu 0xf1ff
	s_delay_alu instid0(VALU_DEP_2)
	v_add_co_ci_u32_e64 v15, s0, v6, v15, s0
	s_clause 0x1d
	global_load_b32 v1, v[14:15], off
	global_load_b32 v6, v[14:15], off offset:324
	global_load_b32 v16, v[14:15], off offset:648
	;; [unrolled: 1-line block ×29, first 2 shown]
	v_lshl_add_u32 v15, v0, 2, 0
	s_delay_alu instid0(VALU_DEP_1)
	v_add_nc_u32_e32 v44, 0x600, v15
	v_add_nc_u32_e32 v43, 0x400, v15
	;; [unrolled: 1-line block ×13, first 2 shown]
	s_wait_loadcnt 0x1c
	ds_store_2addr_b32 v15, v1, v6 offset1:81
	s_wait_loadcnt 0x1a
	ds_store_2addr_b32 v15, v16, v17 offset0:162 offset1:243
	s_wait_loadcnt 0x18
	ds_store_2addr_b32 v43, v18, v19 offset0:68 offset1:149
	s_wait_loadcnt 0x16
	ds_store_2addr_b32 v44, v20, v21 offset0:102 offset1:183
	s_wait_loadcnt 0x14
	ds_store_2addr_b32 v45, v22, v23 offset0:136 offset1:217
	s_wait_loadcnt 0x12
	ds_store_2addr_b32 v46, v24, v25 offset0:42 offset1:123
	s_wait_loadcnt 0x10
	ds_store_2addr_b32 v47, v26, v27 offset0:76 offset1:157
	s_wait_loadcnt 0xe
	ds_store_2addr_b32 v48, v28, v29 offset0:110 offset1:191
	s_wait_loadcnt 0xc
	ds_store_2addr_b32 v49, v30, v31 offset0:16 offset1:97
	s_wait_loadcnt 0xa
	ds_store_2addr_b32 v50, v32, v33 offset0:50 offset1:131
	s_wait_loadcnt 0x8
	ds_store_2addr_b32 v51, v34, v35 offset0:84 offset1:165
	s_wait_loadcnt 0x6
	ds_store_2addr_b32 v52, v36, v37 offset0:118 offset1:199
	s_wait_loadcnt 0x4
	ds_store_2addr_b32 v53, v38, v39 offset0:152 offset1:233
	s_wait_loadcnt 0x2
	ds_store_2addr_b32 v54, v40, v41 offset0:58 offset1:139
	s_wait_loadcnt 0x0
	ds_store_2addr_b32 v55, v42, v14 offset0:92 offset1:173
.LBB0_13:
	s_or_b32 exec_lo, exec_lo, s1
	v_lshlrev_b32_e32 v1, 2, v0
	global_wb scope:SCOPE_SE
	s_wait_dscnt 0x0
	s_barrier_signal -1
	s_barrier_wait -1
	global_inv scope:SCOPE_SE
	v_add_nc_u32_e32 v44, 0, v1
	v_cmp_gt_u32_e64 s0, 9, v0
	s_mov_b32 s1, exec_lo
	s_delay_alu instid0(VALU_DEP_2)
	v_add_nc_u32_e32 v47, 0x1000, v44
	v_add_nc_u32_e32 v48, 0x1800, v44
	;; [unrolled: 1-line block ×4, first 2 shown]
	ds_load_2addr_b32 v[18:19], v44 offset0:162 offset1:243
	ds_load_2addr_b32 v[20:21], v47 offset0:110 offset1:191
	;; [unrolled: 1-line block ×5, first 2 shown]
	v_add_nc_u32_e32 v24, 0x400, v44
	v_add_nc_u32_e32 v49, 0xc00, v44
	;; [unrolled: 1-line block ×5, first 2 shown]
	ds_load_2addr_b32 v[38:39], v24 offset0:68 offset1:149
	ds_load_2addr_b32 v[36:37], v49 offset0:42 offset1:123
	;; [unrolled: 1-line block ×5, first 2 shown]
	v_add_nc_u32_e32 v53, 0xe00, v44
	s_wait_dscnt 0x9
	v_lshrrev_b32_e32 v68, 16, v18
	s_wait_dscnt 0x8
	v_lshrrev_b32_e32 v29, 16, v20
	s_wait_dscnt 0x7
	v_add_f16_e32 v26, v20, v22
	s_wait_dscnt 0x6
	v_lshrrev_b32_e32 v27, 16, v16
	s_wait_dscnt 0x5
	v_lshrrev_b32_e32 v28, 16, v14
	v_lshrrev_b32_e32 v30, 16, v22
	v_add_f16_e32 v33, v16, v14
	v_fma_f16 v62, -0.5, v26, v18
	v_sub_f16_e32 v31, v14, v22
	v_sub_f16_e32 v26, v27, v28
	;; [unrolled: 1-line block ×6, first 2 shown]
	v_fmamk_f16 v59, v26, 0x3b9c, v62
	v_fmac_f16_e32 v62, 0xbb9c, v26
	v_fma_f16 v60, -0.5, v33, v18
	v_add_f16_e32 v33, v29, v30
	v_add_f16_e32 v31, v32, v31
	;; [unrolled: 1-line block ×4, first 2 shown]
	v_fmac_f16_e32 v59, 0x38b4, v52
	v_fmac_f16_e32 v62, 0xb8b4, v52
	v_sub_f16_e32 v51, v16, v14
	v_fma_f16 v69, -0.5, v33, v68
	v_fmamk_f16 v66, v52, 0xbb9c, v60
	v_fmac_f16_e32 v60, 0x3b9c, v52
	v_fmac_f16_e32 v59, 0x34f2, v31
	;; [unrolled: 1-line block ×3, first 2 shown]
	v_sub_f16_e32 v31, v20, v22
	v_fmac_f16_e32 v68, -0.5, v34
	v_fmamk_f16 v67, v51, 0xbb9c, v69
	v_sub_f16_e32 v33, v27, v29
	v_sub_f16_e32 v35, v28, v30
	v_fmac_f16_e32 v69, 0x3b9c, v51
	v_fmac_f16_e32 v66, 0x38b4, v26
	v_fmac_f16_e32 v60, 0xb8b4, v26
	v_fmamk_f16 v71, v31, 0x3b9c, v68
	v_sub_f16_e32 v27, v29, v27
	v_sub_f16_e32 v28, v30, v28
	v_fmac_f16_e32 v68, 0xbb9c, v31
	v_fmac_f16_e32 v67, 0xb8b4, v31
	v_add_f16_e32 v26, v33, v35
	v_fmac_f16_e32 v69, 0x38b4, v31
	v_fmac_f16_e32 v66, 0x34f2, v32
	;; [unrolled: 1-line block ×4, first 2 shown]
	s_wait_dscnt 0x3
	v_lshrrev_b32_e32 v32, 16, v37
	s_wait_dscnt 0x0
	v_lshrrev_b32_e32 v33, 16, v25
	v_lshrrev_b32_e32 v29, 16, v41
	;; [unrolled: 1-line block ×3, first 2 shown]
	v_add_f16_e32 v27, v27, v28
	v_fmac_f16_e32 v68, 0x38b4, v51
	v_add_f16_e32 v28, v37, v25
	v_sub_f16_e32 v34, v25, v43
	v_sub_f16_e32 v35, v37, v41
	v_fmac_f16_e32 v67, 0x34f2, v26
	v_fmac_f16_e32 v69, 0x34f2, v26
	v_add_f16_e32 v26, v41, v43
	v_sub_f16_e32 v31, v29, v30
	v_fmac_f16_e32 v71, 0x34f2, v27
	v_fma_f16 v61, -0.5, v28, v39
	v_fmac_f16_e32 v68, 0x34f2, v27
	v_add_f16_e32 v27, v35, v34
	v_add_f16_e32 v28, v29, v30
	v_lshrrev_b32_e32 v64, 16, v39
	v_add_f16_e32 v34, v32, v33
	v_fma_f16 v56, -0.5, v26, v39
	v_sub_f16_e32 v26, v32, v33
	v_fmamk_f16 v63, v31, 0xbb9c, v61
	v_fma_f16 v65, -0.5, v28, v64
	v_sub_f16_e32 v28, v37, v25
	v_sub_f16_e32 v35, v41, v43
	v_fmac_f16_e32 v64, -0.5, v34
	v_sub_f16_e32 v34, v43, v25
	v_sub_f16_e32 v51, v41, v37
	v_fmac_f16_e32 v61, 0x3b9c, v31
	v_fmamk_f16 v57, v26, 0x3b9c, v56
	v_fmac_f16_e32 v56, 0xbb9c, v26
	v_fmamk_f16 v70, v28, 0xbb9c, v65
	v_sub_f16_e32 v52, v32, v29
	v_fmamk_f16 v72, v35, 0x3b9c, v64
	v_sub_f16_e32 v29, v29, v32
	v_sub_f16_e32 v32, v30, v33
	v_sub_f16_e32 v30, v33, v30
	v_add_f16_e32 v33, v51, v34
	v_fmac_f16_e32 v65, 0x3b9c, v28
	v_fmac_f16_e32 v64, 0xbb9c, v35
	;; [unrolled: 1-line block ×8, first 2 shown]
	v_add_f16_e32 v29, v29, v32
	v_add_f16_e32 v30, v52, v30
	v_fmac_f16_e32 v65, 0x38b4, v35
	v_fmac_f16_e32 v64, 0x38b4, v28
	;; [unrolled: 1-line block ×3, first 2 shown]
	v_add_nc_u32_e32 v51, 0x1600, v44
	v_fmac_f16_e32 v57, 0x34f2, v27
	v_fmac_f16_e32 v56, 0x34f2, v27
	v_add_nc_u32_e32 v27, 0x600, v44
	v_add_nc_u32_e32 v52, 0x1c00, v44
	v_fmac_f16_e32 v63, 0x34f2, v33
	v_fmac_f16_e32 v72, 0x34f2, v29
	;; [unrolled: 1-line block ×5, first 2 shown]
	v_mul_f16_e32 v26, 0x34f2, v61
	ds_load_2addr_b32 v[28:29], v53 offset0:76 offset1:157
	ds_load_2addr_b32 v[30:31], v51 offset0:50 offset1:131
	;; [unrolled: 1-line block ×4, first 2 shown]
	v_mul_f16_e32 v73, 0x3a79, v57
	v_mul_f16_e32 v74, 0x3b9c, v72
	;; [unrolled: 1-line block ×3, first 2 shown]
	v_fma_f16 v75, v64, 0x3b9c, -v26
	ds_load_2addr_b32 v[26:27], v44 offset1:81
	v_fmac_f16_e32 v73, 0x38b4, v70
	v_fmac_f16_e32 v74, 0x34f2, v63
	v_mul_f16_e32 v76, 0x3a79, v56
	v_mul_f16_e32 v78, 0xbb9c, v63
	;; [unrolled: 1-line block ×3, first 2 shown]
	v_fmac_f16_e32 v77, 0x3a79, v70
	v_add_f16_e32 v55, v59, v73
	v_add_f16_e32 v54, v66, v74
	;; [unrolled: 1-line block ×3, first 2 shown]
	v_mul_f16_e32 v63, 0x3a79, v65
	v_fma_f16 v76, v65, 0x38b4, -v76
	v_fmac_f16_e32 v78, 0x34f2, v72
	s_wait_dscnt 0x3
	v_add_f16_e32 v70, v29, v31
	s_wait_dscnt 0x2
	v_lshrrev_b32_e32 v80, 16, v33
	s_wait_dscnt 0x1
	v_lshrrev_b32_e32 v81, 16, v35
	v_fma_f16 v72, v61, 0xbb9c, -v57
	v_sub_f16_e32 v61, v59, v73
	v_sub_f16_e32 v59, v66, v74
	;; [unrolled: 1-line block ×3, first 2 shown]
	s_wait_dscnt 0x0
	v_fma_f16 v70, -0.5, v70, v27
	v_sub_f16_e32 v73, v80, v81
	v_lshrrev_b32_e32 v74, 16, v29
	v_lshrrev_b32_e32 v75, 16, v31
	v_fma_f16 v79, v56, 0xb8b4, -v63
	v_add_f16_e32 v56, v62, v76
	v_add_f16_e32 v64, v67, v77
	;; [unrolled: 1-line block ×3, first 2 shown]
	v_sub_f16_e32 v62, v62, v76
	v_sub_f16_e32 v67, v67, v77
	;; [unrolled: 1-line block ×3, first 2 shown]
	v_fmamk_f16 v76, v73, 0x3b9c, v70
	v_sub_f16_e32 v77, v74, v75
	v_sub_f16_e32 v71, v35, v31
	;; [unrolled: 1-line block ×3, first 2 shown]
	v_fmac_f16_e32 v70, 0xbb9c, v73
	v_add_f16_e32 v82, v33, v35
	v_add_f16_e32 v65, v68, v72
	v_sub_f16_e32 v68, v68, v72
	v_fmac_f16_e32 v76, 0x38b4, v77
	v_add_f16_e32 v72, v78, v71
	v_fmac_f16_e32 v70, 0xb8b4, v77
	v_fma_f16 v71, -0.5, v82, v27
	v_add_f16_e32 v57, v69, v79
	v_sub_f16_e32 v78, v31, v35
	v_sub_f16_e32 v82, v29, v33
	;; [unrolled: 1-line block ×3, first 2 shown]
	v_fmac_f16_e32 v76, 0x34f2, v72
	v_fmac_f16_e32 v70, 0x34f2, v72
	v_fmamk_f16 v72, v77, 0xbb9c, v71
	v_fmac_f16_e32 v71, 0x3b9c, v77
	v_add_f16_e32 v77, v74, v75
	v_lshrrev_b32_e32 v79, 16, v27
	v_add_f16_e32 v78, v82, v78
	v_sub_f16_e32 v82, v80, v74
	v_sub_f16_e32 v83, v81, v75
	v_add_f16_e32 v84, v80, v81
	v_fma_f16 v77, -0.5, v77, v79
	v_sub_f16_e32 v85, v33, v35
	v_pk_add_f16 v37, v39, v37
	v_fmac_f16_e32 v72, 0x38b4, v73
	v_fmac_f16_e32 v71, 0xb8b4, v73
	v_add_f16_e32 v73, v82, v83
	v_fmac_f16_e32 v79, -0.5, v84
	v_fmamk_f16 v82, v85, 0xbb9c, v77
	v_sub_f16_e32 v39, v29, v31
	v_fmac_f16_e32 v77, 0x3b9c, v85
	v_pk_add_f16 v37, v37, v41
	v_sub_f16_e32 v41, v74, v80
	v_sub_f16_e32 v74, v75, v81
	v_fmac_f16_e32 v82, 0xb8b4, v39
	v_fmac_f16_e32 v77, 0x38b4, v39
	v_pk_add_f16 v37, v37, v43
	v_fmac_f16_e32 v72, 0x34f2, v78
	v_fmac_f16_e32 v71, 0x34f2, v78
	v_fmamk_f16 v43, v39, 0x3b9c, v79
	v_add_f16_e32 v41, v41, v74
	v_fmac_f16_e32 v79, 0xbb9c, v39
	v_sub_f16_e32 v39, v24, v42
	v_sub_f16_e32 v74, v36, v40
	v_add_f16_e32 v75, v40, v42
	v_lshrrev_b32_e32 v78, 16, v36
	v_lshrrev_b32_e32 v80, 16, v24
	v_fmac_f16_e32 v82, 0x34f2, v73
	v_fmac_f16_e32 v77, 0x34f2, v73
	v_pk_add_f16 v73, v38, v36
	v_add_f16_e32 v39, v74, v39
	v_lshrrev_b32_e32 v74, 16, v42
	v_lshrrev_b32_e32 v83, 16, v40
	v_fma_f16 v75, -0.5, v75, v38
	v_sub_f16_e32 v84, v78, v80
	v_pk_add_f16 v73, v73, v40
	v_add_f16_e32 v81, v36, v24
	v_sub_f16_e32 v86, v83, v74
	v_fmac_f16_e32 v43, 0xb8b4, v85
	v_fmamk_f16 v87, v84, 0x3b9c, v75
	v_fmac_f16_e32 v75, 0xbb9c, v84
	v_fmac_f16_e32 v79, 0x38b4, v85
	v_pk_add_f16 v73, v73, v42
	v_sub_f16_e32 v85, v42, v24
	v_fma_f16 v81, -0.5, v81, v38
	v_sub_f16_e32 v42, v40, v42
	v_sub_f16_e32 v40, v40, v36
	v_fmac_f16_e32 v87, 0x38b4, v86
	v_fmac_f16_e32 v75, 0xb8b4, v86
	v_fmamk_f16 v88, v86, 0xbb9c, v81
	v_fmac_f16_e32 v81, 0x3b9c, v86
	v_add_f16_e32 v40, v40, v85
	v_fmac_f16_e32 v87, 0x34f2, v39
	v_fmac_f16_e32 v75, 0x34f2, v39
	v_lshrrev_b32_e32 v38, 16, v38
	v_add_f16_e32 v39, v83, v74
	v_add_f16_e32 v85, v78, v80
	v_fmac_f16_e32 v88, 0x38b4, v84
	v_fmac_f16_e32 v81, 0xb8b4, v84
	;; [unrolled: 1-line block ×4, first 2 shown]
	v_sub_f16_e32 v41, v78, v83
	v_sub_f16_e32 v84, v80, v74
	;; [unrolled: 1-line block ×3, first 2 shown]
	v_fma_f16 v39, -0.5, v39, v38
	v_fmac_f16_e32 v38, -0.5, v85
	v_pk_add_f16 v27, v27, v33
	v_fmac_f16_e32 v88, 0x34f2, v40
	v_fmac_f16_e32 v81, 0x34f2, v40
	v_add_f16_e32 v40, v41, v84
	v_sub_f16_e32 v41, v83, v78
	v_fmamk_f16 v78, v36, 0xbb9c, v39
	v_sub_f16_e32 v33, v74, v80
	v_fmamk_f16 v74, v42, 0x3b9c, v38
	v_fmac_f16_e32 v39, 0x3b9c, v36
	v_pk_add_f16 v27, v27, v29
	v_fmac_f16_e32 v38, 0xbb9c, v42
	v_add_f16_e32 v29, v41, v33
	v_fmac_f16_e32 v78, 0xb8b4, v42
	v_fmac_f16_e32 v39, 0x38b4, v42
	v_pk_add_f16 v27, v27, v31
	v_fmac_f16_e32 v38, 0x38b4, v36
	v_fmac_f16_e32 v74, 0xb8b4, v36
	v_mul_f16_e32 v33, 0x34f2, v81
	v_fmac_f16_e32 v39, 0x34f2, v40
	v_pk_add_f16 v27, v27, v35
	v_fmac_f16_e32 v38, 0x34f2, v29
	v_mul_f16_e32 v35, 0x3a79, v75
	v_fmac_f16_e32 v78, 0x34f2, v40
	v_fmac_f16_e32 v74, 0x34f2, v29
	v_pk_add_f16 v24, v73, v24
	v_mul_f16_e32 v73, 0xbb9c, v88
	v_fma_f16 v40, v38, 0x3b9c, -v33
	v_mul_f16_e32 v38, 0x34f2, v38
	v_fma_f16 v41, v39, 0x38b4, -v35
	v_mul_f16_e32 v39, 0x3a79, v39
	v_mul_f16_e32 v36, 0x3a79, v87
	v_pk_add_f16 v25, v37, v25
	v_mul_f16_e32 v37, 0x3b9c, v74
	v_mul_f16_e32 v42, 0xb8b4, v87
	v_fmac_f16_e32 v73, 0x34f2, v74
	v_fma_f16 v74, v81, 0xbb9c, -v38
	v_fma_f16 v75, v75, 0xb8b4, -v39
	v_fmac_f16_e32 v36, 0x38b4, v78
	v_fmac_f16_e32 v37, 0x34f2, v88
	;; [unrolled: 1-line block ×3, first 2 shown]
	v_add_f16_e32 v33, v71, v40
	v_add_f16_e32 v35, v70, v41
	;; [unrolled: 1-line block ×3, first 2 shown]
	v_sub_f16_e32 v40, v71, v40
	v_add_f16_e32 v71, v79, v74
	v_sub_f16_e32 v41, v70, v41
	v_add_f16_e32 v70, v77, v75
	v_sub_f16_e32 v43, v43, v73
	v_sub_f16_e32 v73, v79, v74
	;; [unrolled: 1-line block ×3, first 2 shown]
	v_lshrrev_b32_e32 v75, 16, v34
	v_add_f16_e32 v77, v28, v30
	v_lshrrev_b32_e32 v78, 16, v32
	v_add_f16_e32 v31, v72, v37
	v_add_f16_e32 v38, v82, v42
	v_sub_f16_e32 v37, v72, v37
	v_pk_add_f16 v72, v26, v32
	v_sub_f16_e32 v42, v82, v42
	v_lshrrev_b32_e32 v81, 16, v28
	v_fma_f16 v77, -0.5, v77, v26
	v_sub_f16_e32 v82, v78, v75
	v_lshrrev_b32_e32 v83, 16, v30
	v_add_f16_e32 v29, v76, v36
	v_sub_f16_e32 v36, v76, v36
	v_pk_add_f16 v72, v72, v28
	v_sub_f16_e32 v76, v34, v30
	v_sub_f16_e32 v84, v32, v28
	v_fmamk_f16 v85, v82, 0x3b9c, v77
	v_sub_f16_e32 v86, v81, v83
	v_fmac_f16_e32 v77, 0xbb9c, v82
	v_pk_add_f16 v72, v72, v30
	v_add_f16_e32 v79, v32, v34
	v_add_f16_e32 v76, v84, v76
	v_fmac_f16_e32 v85, 0x38b4, v86
	v_fmac_f16_e32 v77, 0xb8b4, v86
	v_sub_f16_e32 v80, v30, v34
	v_pk_add_f16 v72, v72, v34
	v_sub_f16_e32 v34, v32, v34
	v_sub_f16_e32 v32, v28, v32
	v_fma_f16 v79, -0.5, v79, v26
	v_fmac_f16_e32 v85, 0x34f2, v76
	v_fmac_f16_e32 v77, 0x34f2, v76
	v_lshrrev_b32_e32 v26, 16, v26
	v_add_f16_e32 v76, v81, v83
	v_add_f16_e32 v32, v32, v80
	v_sub_f16_e32 v80, v78, v81
	v_sub_f16_e32 v84, v75, v83
	;; [unrolled: 1-line block ×3, first 2 shown]
	v_fma_f16 v76, -0.5, v76, v26
	v_fmamk_f16 v30, v86, 0xbb9c, v79
	v_fmac_f16_e32 v79, 0x3b9c, v86
	v_add_f16_e32 v86, v78, v75
	v_pk_add_f16 v16, v18, v16
	v_add_f16_e32 v18, v80, v84
	v_fmamk_f16 v80, v34, 0xbb9c, v76
	v_fmac_f16_e32 v76, 0x3b9c, v34
	v_fmac_f16_e32 v30, 0x38b4, v82
	;; [unrolled: 1-line block ×3, first 2 shown]
	v_fmac_f16_e32 v26, -0.5, v86
	v_fmac_f16_e32 v80, 0xb8b4, v28
	v_fmac_f16_e32 v76, 0x38b4, v28
	v_pk_add_f16 v16, v16, v20
	v_sub_f16_e32 v20, v81, v78
	v_sub_f16_e32 v75, v83, v75
	v_fmac_f16_e32 v30, 0x34f2, v32
	v_fmac_f16_e32 v79, 0x34f2, v32
	;; [unrolled: 1-line block ×4, first 2 shown]
	v_fmamk_f16 v18, v28, 0x3b9c, v26
	v_fmac_f16_e32 v26, 0xbb9c, v28
	v_sub_f16_e32 v28, v15, v23
	v_sub_f16_e32 v32, v17, v21
	v_pk_add_f16 v16, v16, v22
	v_add_f16_e32 v20, v20, v75
	v_pk_add_f16 v22, v19, v17
	v_fmac_f16_e32 v18, 0xb8b4, v34
	v_fmac_f16_e32 v26, 0x38b4, v34
	v_add_f16_e32 v34, v21, v23
	v_add_f16_e32 v28, v32, v28
	v_lshrrev_b32_e32 v32, 16, v23
	v_lshrrev_b32_e32 v75, 16, v17
	;; [unrolled: 1-line block ×3, first 2 shown]
	v_add_f16_e32 v81, v17, v15
	v_lshrrev_b32_e32 v82, 16, v21
	v_pk_add_f16 v22, v22, v21
	v_fma_f16 v34, -0.5, v34, v19
	v_sub_f16_e32 v83, v75, v78
	v_fma_f16 v81, -0.5, v81, v19
	v_sub_f16_e32 v86, v82, v32
	v_pk_add_f16 v22, v22, v23
	v_sub_f16_e32 v84, v23, v15
	v_sub_f16_e32 v23, v21, v23
	v_fmamk_f16 v87, v83, 0x3b9c, v34
	v_fmac_f16_e32 v34, 0xbb9c, v83
	v_sub_f16_e32 v21, v21, v17
	v_fmamk_f16 v88, v86, 0xbb9c, v81
	v_fmac_f16_e32 v81, 0x3b9c, v86
	v_fmac_f16_e32 v87, 0x38b4, v86
	;; [unrolled: 1-line block ×3, first 2 shown]
	v_add_f16_e32 v21, v21, v84
	v_fmac_f16_e32 v88, 0x38b4, v83
	v_fmac_f16_e32 v81, 0xb8b4, v83
	;; [unrolled: 1-line block ×8, first 2 shown]
	v_add_f16_e32 v20, v82, v32
	v_lshrrev_b32_e32 v19, 16, v19
	v_sub_f16_e32 v21, v75, v82
	v_sub_f16_e32 v28, v78, v32
	v_pk_add_f16 v14, v16, v14
	v_sub_f16_e32 v17, v17, v15
	v_fma_f16 v16, -0.5, v20, v19
	v_pk_add_f16 v15, v22, v15
	v_add_f16_e32 v20, v21, v28
	v_add_f16_e32 v21, v75, v78
	v_sub_f16_e32 v22, v82, v75
	v_fmamk_f16 v28, v17, 0xbb9c, v16
	v_fmac_f16_e32 v16, 0x3b9c, v17
	v_sub_f16_e32 v32, v32, v78
	v_fmac_f16_e32 v19, -0.5, v21
	v_mul_i32_i24_e32 v75, 10, v5
	v_fmac_f16_e32 v28, 0xb8b4, v23
	v_fmac_f16_e32 v16, 0x38b4, v23
	v_add_f16_e32 v32, v22, v32
	v_fmamk_f16 v78, v23, 0x3b9c, v19
	v_fmac_f16_e32 v19, 0xbb9c, v23
	v_fmac_f16_e32 v28, 0x34f2, v20
	;; [unrolled: 1-line block ×3, first 2 shown]
	v_mul_f16_e32 v20, 0xb8b4, v87
	v_fmac_f16_e32 v78, 0xb8b4, v17
	v_fmac_f16_e32 v19, 0x38b4, v17
	v_mul_f16_e32 v17, 0x3a79, v87
	v_lshl_add_u32 v23, v75, 2, 0
	v_mul_f16_e32 v75, 0x34f2, v81
	v_fmac_f16_e32 v78, 0x34f2, v32
	v_fmac_f16_e32 v19, 0x34f2, v32
	;; [unrolled: 1-line block ×4, first 2 shown]
	v_mul_f16_e32 v28, 0x3a79, v34
	v_mul_f16_e32 v32, 0x3b9c, v78
	;; [unrolled: 1-line block ×3, first 2 shown]
	v_fma_f16 v75, v19, 0x3b9c, -v75
	v_mul_f16_e32 v19, 0x34f2, v19
	v_fma_f16 v28, v16, 0x38b4, -v28
	v_mul_f16_e32 v16, 0x3a79, v16
	v_fmac_f16_e32 v32, 0x34f2, v88
	v_fmac_f16_e32 v82, 0x34f2, v78
	v_fma_f16 v19, v81, 0xbb9c, -v19
	v_mul_u32_u24_e32 v21, 10, v0
	v_fma_f16 v16, v34, 0xb8b4, -v16
	v_add_f16_e32 v34, v85, v17
	v_add_f16_e32 v83, v30, v32
	v_sub_f16_e32 v30, v30, v32
	v_add_f16_e32 v32, v79, v75
	v_sub_f16_e32 v75, v79, v75
	;; [unrolled: 2-line block ×7, first 2 shown]
	v_sub_f16_e32 v16, v76, v16
	v_lshl_add_u32 v21, v21, 2, 0
	v_pk_add_f16 v76, v72, v15
	v_pack_b32_f16 v34, v34, v77
	v_pack_b32_f16 v32, v32, v82
	;; [unrolled: 1-line block ×3, first 2 shown]
	v_pk_add_f16 v15, v72, v15 neg_lo:[0,1] neg_hi:[0,1]
	v_pack_b32_f16 v26, v79, v26
	v_pack_b32_f16 v17, v17, v20
	;; [unrolled: 1-line block ×5, first 2 shown]
	v_pk_add_f16 v81, v27, v24
	global_wb scope:SCOPE_SE
	s_barrier_signal -1
	s_barrier_wait -1
	global_inv scope:SCOPE_SE
	ds_store_2addr_b32 v21, v76, v34 offset1:1
	ds_store_2addr_b32 v21, v77, v32 offset0:2 offset1:3
	ds_store_2addr_b32 v21, v26, v15 offset0:4 offset1:5
	ds_store_2addr_b32 v21, v17, v18 offset0:6 offset1:7
	ds_store_2addr_b32 v21, v19, v16 offset0:8 offset1:9
	v_pack_b32_f16 v15, v29, v38
	v_pack_b32_f16 v26, v40, v73
	v_and_b32_e32 v40, 0xff, v0
	v_pack_b32_f16 v16, v33, v71
	v_pack_b32_f16 v17, v31, v39
	v_pk_add_f16 v18, v27, v24 neg_lo:[0,1] neg_hi:[0,1]
	v_pack_b32_f16 v19, v35, v70
	v_pack_b32_f16 v20, v36, v42
	;; [unrolled: 1-line block ×3, first 2 shown]
	ds_store_2addr_b32 v23, v81, v15 offset1:1
	ds_store_2addr_b32 v23, v17, v16 offset0:2 offset1:3
	ds_store_2addr_b32 v23, v19, v18 offset0:4 offset1:5
	;; [unrolled: 1-line block ×3, first 2 shown]
	v_mul_lo_u16 v15, 0xcd, v40
	v_and_b32_e32 v39, 0xff, v5
	v_mul_i32_i24_e32 v22, 10, v13
	v_pack_b32_f16 v24, v41, v74
	v_pk_add_f16 v78, v14, v25
	v_lshrrev_b16 v30, 11, v15
	v_mul_lo_u16 v21, 0xcd, v39
	v_lshl_add_u32 v22, v22, 2, 0
	v_pack_b32_f16 v16, v55, v64
	v_pack_b32_f16 v15, v56, v57
	v_mul_lo_u16 v20, v30, 10
	v_lshrrev_b16 v57, 11, v21
	v_pack_b32_f16 v17, v58, v65
	v_pack_b32_f16 v18, v54, v63
	v_pk_add_f16 v14, v14, v25 neg_lo:[0,1] neg_hi:[0,1]
	ds_store_2addr_b32 v23, v26, v24 offset0:8 offset1:9
	v_pack_b32_f16 v19, v61, v67
	v_pack_b32_f16 v24, v59, v66
	;; [unrolled: 1-line block ×4, first 2 shown]
	v_sub_nc_u16 v27, v0, v20
	ds_store_2addr_b32 v22, v78, v16 offset1:1
	ds_store_2addr_b32 v22, v18, v17 offset0:2 offset1:3
	ds_store_2addr_b32 v22, v15, v14 offset0:4 offset1:5
	ds_store_2addr_b32 v22, v19, v24 offset0:6 offset1:7
	ds_store_2addr_b32 v22, v26, v25 offset0:8 offset1:9
	v_and_b32_e32 v20, 0xff, v13
	v_mul_lo_u16 v14, v57, 10
	v_and_b32_e32 v21, 0xffff, v12
	v_and_b32_e32 v31, 0xff, v27
	global_wb scope:SCOPE_SE
	s_wait_dscnt 0x0
	v_mul_lo_u16 v15, 0xcd, v20
	v_sub_nc_u16 v17, v5, v14
	s_barrier_signal -1
	v_lshlrev_b32_e32 v16, 3, v31
	s_barrier_wait -1
	v_lshrrev_b16 v61, 11, v15
	v_and_b32_e32 v65, 0xff, v17
	v_mul_u32_u24_e32 v17, 0xcccd, v21
	global_inv scope:SCOPE_SE
	global_load_b64 v[14:15], v16, s[4:5]
	v_mul_lo_u16 v16, v61, 10
	v_lshlrev_b32_e32 v18, 3, v65
	v_lshrrev_b32_e32 v62, 19, v17
	v_and_b32_e32 v37, 0xffff, v11
	v_and_b32_e32 v38, 0xffff, v10
	v_sub_nc_u16 v19, v13, v16
	global_load_b64 v[16:17], v18, s[4:5]
	v_mul_lo_u16 v18, v62, 10
	v_and_b32_e32 v33, 0xffff, v9
	v_mul_u32_u24_e32 v26, 0xcccd, v38
	v_and_b32_e32 v67, 0xff, v19
	v_mul_u32_u24_e32 v19, 0xcccd, v37
	v_sub_nc_u16 v25, v12, v18
	v_and_b32_e32 v34, 0xffff, v8
	v_lshrrev_b32_e32 v42, 19, v26
	v_lshlrev_b32_e32 v24, 3, v67
	v_lshrrev_b32_e32 v64, 19, v19
	v_and_b32_e32 v66, 0xffff, v25
	v_mul_u32_u24_e32 v26, 0xcccd, v33
	v_lshl_add_u32 v29, v12, 2, 0
	global_load_b64 v[18:19], v24, s[4:5]
	v_lshl_add_u32 v28, v11, 2, 0
	v_lshlrev_b32_e32 v25, 3, v66
	v_lshrrev_b32_e32 v56, 19, v26
	v_lshl_add_u32 v27, v10, 2, 0
	v_and_b32_e32 v30, 0xffff, v30
	v_lshlrev_b32_e32 v31, 2, v31
	global_load_b64 v[35:36], v25, s[4:5]
	v_mul_lo_u16 v24, v64, 10
	v_mul_lo_u16 v25, v42, 10
	v_mul_u32_u24_e32 v30, 0x78, v30
	v_and_b32_e32 v57, 0xffff, v57
	v_lshlrev_b32_e32 v65, 2, v65
	v_sub_nc_u16 v24, v11, v24
	v_and_b32_e32 v61, 0xffff, v61
	v_lshlrev_b32_e32 v67, 2, v67
	v_mul_u32_u24_e32 v57, 0x78, v57
	v_mul_u32_u24_e32 v62, 0x78, v62
	v_and_b32_e32 v68, 0xffff, v24
	v_mul_u32_u24_e32 v61, 0x78, v61
	v_lshlrev_b32_e32 v66, 2, v66
	v_add3_u32 v57, 0, v57, v65
	v_mul_u32_u24_e32 v64, 0x78, v64
	v_lshlrev_b32_e32 v24, 3, v68
	v_add3_u32 v61, 0, v61, v67
	v_add3_u32 v62, 0, v62, v66
	v_lshlrev_b32_e32 v68, 2, v68
	v_mul_u32_u24_e32 v42, 0x78, v42
	global_load_b64 v[71:72], v24, s[4:5]
	v_sub_nc_u16 v24, v10, v25
	v_mul_u32_u24_e32 v25, 0xcccd, v34
	v_add3_u32 v64, 0, v64, v68
	v_mul_lo_u16 v40, 0x89, v40
	s_delay_alu instid0(VALU_DEP_4) | instskip(SKIP_3) | instid1(VALU_DEP_4)
	v_and_b32_e32 v59, 0xffff, v24
	v_mul_lo_u16 v24, v56, 10
	v_lshrrev_b32_e32 v55, 19, v25
	v_mul_u32_u24_e32 v56, 0x78, v56
	v_lshlrev_b32_e32 v26, 3, v59
	s_delay_alu instid0(VALU_DEP_4) | instskip(NEXT) | instid1(VALU_DEP_4)
	v_sub_nc_u16 v24, v9, v24
	v_mul_lo_u16 v25, v55, 10
	v_lshlrev_b32_e32 v59, 2, v59
	v_mul_u32_u24_e32 v55, 0x78, v55
	global_load_b64 v[73:74], v26, s[4:5]
	v_and_b32_e32 v60, 0xffff, v24
	v_sub_nc_u16 v24, v8, v25
	v_add3_u32 v42, 0, v42, v59
	s_delay_alu instid0(VALU_DEP_3) | instskip(NEXT) | instid1(VALU_DEP_3)
	v_lshlrev_b32_e32 v25, 3, v60
	v_and_b32_e32 v58, 0xffff, v24
	v_lshlrev_b32_e32 v60, 2, v60
	global_load_b64 v[75:76], v25, s[4:5]
	v_lshlrev_b32_e32 v24, 3, v58
	v_lshl_add_u32 v26, v9, 2, 0
	v_lshlrev_b32_e32 v58, 2, v58
	v_add3_u32 v56, 0, v56, v60
	global_load_b64 v[77:78], v24, s[4:5]
	ds_load_2addr_b32 v[79:80], v48 offset0:84 offset1:165
	ds_load_2addr_b32 v[81:82], v49 offset0:42 offset1:123
	;; [unrolled: 1-line block ×4, first 2 shown]
	ds_load_u16 v87, v44 offset:3242
	v_lshl_add_u32 v25, v8, 2, 0
	v_lshl_add_u32 v24, v7, 2, 0
	ds_load_b32 v70, v29
	ds_load_b32 v69, v28
	;; [unrolled: 1-line block ×7, first 2 shown]
	s_wait_dscnt 0xb
	v_lshrrev_b32_e32 v32, 16, v79
	s_wait_dscnt 0xa
	v_lshrrev_b32_e32 v88, 16, v82
	v_lshrrev_b32_e32 v89, 16, v80
	s_wait_dscnt 0x9
	v_lshrrev_b32_e32 v90, 16, v83
	s_wait_dscnt 0x8
	v_lshrrev_b32_e32 v91, 16, v85
	v_lshrrev_b32_e32 v96, 16, v84
	s_wait_loadcnt 0x7
	v_lshrrev_b32_e32 v92, 16, v14
	v_lshrrev_b32_e32 v93, 16, v15
	s_wait_dscnt 0x7
	s_delay_alu instid0(VALU_DEP_2)
	v_mul_f16_e32 v95, v87, v92
	v_mul_f16_e32 v92, v92, v81
	s_wait_loadcnt 0x6
	v_lshrrev_b32_e32 v97, 16, v16
	v_mul_f16_e32 v98, v79, v93
	v_fma_f16 v95, v14, v81, -v95
	v_fmac_f16_e32 v92, v87, v14
	s_delay_alu instid0(VALU_DEP_4)
	v_mul_f16_e32 v14, v88, v97
	v_lshrrev_b32_e32 v87, 16, v17
	v_mul_f16_e32 v81, v32, v93
	v_mul_f16_e32 v93, v82, v97
	v_fmac_f16_e32 v98, v32, v15
	v_fma_f16 v97, v82, v16, -v14
	v_mul_f16_e32 v14, v89, v87
	v_fma_f16 v32, v79, v15, -v81
	v_fmac_f16_e32 v93, v88, v16
	s_wait_loadcnt 0x5
	v_lshrrev_b32_e32 v15, 16, v18
	v_mul_f16_e32 v87, v80, v87
	v_fma_f16 v88, v80, v17, -v14
	ds_load_2addr_b32 v[79:80], v52 offset0:152 offset1:233
	v_lshrrev_b32_e32 v82, 16, v19
	v_mul_f16_e32 v16, v90, v15
	v_mul_f16_e32 v99, v83, v15
	v_fmac_f16_e32 v87, v89, v17
	ds_load_2addr_b32 v[14:15], v47 offset0:110 offset1:191
	s_wait_loadcnt 0x4
	v_lshrrev_b32_e32 v17, 16, v35
	v_fma_f16 v83, v83, v18, -v16
	v_mul_f16_e32 v16, v91, v82
	v_lshrrev_b32_e32 v81, 16, v86
	v_lshrrev_b32_e32 v89, 16, v36
	v_mul_f16_e32 v100, v85, v82
	v_fmac_f16_e32 v99, v90, v18
	v_fma_f16 v85, v85, v19, -v16
	v_mul_f16_e32 v16, v96, v17
	v_mul_f16_e32 v90, v84, v17
	;; [unrolled: 1-line block ×3, first 2 shown]
	v_fmac_f16_e32 v100, v91, v19
	v_mul_f16_e32 v89, v86, v89
	v_fma_f16 v84, v84, v35, -v16
	v_fmac_f16_e32 v90, v96, v35
	s_wait_dscnt 0x1
	v_lshrrev_b32_e32 v19, 16, v79
	v_and_b32_e32 v35, 0xffff, v7
	v_fma_f16 v86, v86, v36, -v18
	v_fmac_f16_e32 v89, v81, v36
	s_wait_loadcnt 0x3
	v_lshrrev_b32_e32 v17, 16, v72
	v_lshrrev_b32_e32 v16, 16, v71
	s_wait_dscnt 0x0
	v_lshrrev_b32_e32 v18, 16, v14
	ds_load_2addr_b32 v[81:82], v45 offset0:58 offset1:139
	v_lshrrev_b32_e32 v103, 16, v80
	v_mul_f16_e32 v96, v79, v17
	v_mul_f16_e32 v36, v19, v17
	v_mul_u32_u24_e32 v17, 0xcccd, v35
	v_mul_f16_e32 v91, v14, v16
	v_mul_f16_e32 v16, v18, v16
	v_fmac_f16_e32 v96, v19, v72
	v_lshrrev_b32_e32 v101, 16, v15
	v_lshrrev_b32_e32 v17, 19, v17
	v_fmac_f16_e32 v91, v18, v71
	ds_load_2addr_b32 v[18:19], v46 offset0:16 offset1:97
	v_fma_f16 v107, v14, v71, -v16
	s_wait_loadcnt 0x2
	v_lshrrev_b32_e32 v104, 16, v74
	v_mul_lo_u16 v106, v17, 10
	v_lshrrev_b32_e32 v102, 16, v73
	v_fma_f16 v79, v79, v72, -v36
	v_mul_u32_u24_e32 v17, 0x78, v17
	v_mul_f16_e32 v14, v103, v104
	v_sub_nc_u16 v16, v7, v106
	v_mul_f16_e32 v105, v101, v102
	v_mul_f16_e32 v102, v15, v102
	;; [unrolled: 1-line block ×3, first 2 shown]
	v_fma_f16 v80, v80, v74, -v14
	v_and_b32_e32 v14, 0xffff, v16
	v_fma_f16 v105, v15, v73, -v105
	v_fmac_f16_e32 v102, v101, v73
	v_fmac_f16_e32 v104, v103, v74
	s_wait_loadcnt 0x1
	v_lshrrev_b32_e32 v73, 16, v76
	v_lshlrev_b32_e32 v36, 3, v14
	s_wait_dscnt 0x1
	v_lshrrev_b32_e32 v74, 16, v81
	v_lshrrev_b32_e32 v15, 16, v75
	s_wait_dscnt 0x0
	v_lshrrev_b32_e32 v16, 16, v18
	v_lshrrev_b32_e32 v103, 16, v19
	global_load_b64 v[71:72], v36, s[4:5]
	v_mul_f16_e32 v36, v74, v73
	v_mul_f16_e32 v101, v18, v15
	s_wait_loadcnt 0x1
	v_lshrrev_b32_e32 v106, 16, v77
	v_mul_f16_e32 v108, v81, v73
	v_mul_f16_e32 v15, v16, v15
	v_fma_f16 v81, v81, v76, -v36
	v_and_b32_e32 v36, 0xffff, v4
	v_fmac_f16_e32 v101, v16, v75
	v_mul_f16_e32 v16, v103, v106
	v_fma_f16 v109, v18, v75, -v15
	v_lshrrev_b32_e32 v73, 16, v82
	v_mul_u32_u24_e32 v15, 0xcccd, v36
	v_mul_f16_e32 v106, v19, v106
	v_fma_f16 v110, v19, v77, -v16
	v_lshrrev_b32_e32 v16, 16, v78
	v_fmac_f16_e32 v108, v74, v76
	v_lshrrev_b32_e32 v15, 19, v15
	v_fmac_f16_e32 v106, v103, v77
	v_lshlrev_b32_e32 v14, 2, v14
	v_mul_f16_e32 v18, v73, v16
	v_mul_f16_e32 v111, v82, v16
	v_mul_lo_u16 v16, v15, 10
	v_mul_u32_u24_e32 v15, 0x78, v15
	v_add3_u32 v14, 0, v17, v14
	v_fma_f16 v82, v82, v78, -v18
	v_fmac_f16_e32 v111, v73, v78
	v_sub_nc_u16 v16, v4, v16
	ds_load_2addr_b32 v[73:74], v51 offset0:50 offset1:131
	v_and_b32_e32 v16, 0xffff, v16
	s_delay_alu instid0(VALU_DEP_1)
	v_lshlrev_b32_e32 v18, 3, v16
	v_lshlrev_b32_e32 v16, 2, v16
	global_load_b64 v[18:19], v18, s[4:5]
	v_add3_u32 v15, 0, v15, v16
	s_wait_dscnt 0x0
	v_lshrrev_b32_e32 v76, 16, v73
	s_wait_loadcnt 0x1
	v_lshrrev_b32_e32 v75, 16, v71
	v_lshrrev_b32_e32 v103, 16, v72
	s_delay_alu instid0(VALU_DEP_2) | instskip(SKIP_1) | instid1(VALU_DEP_2)
	v_mul_f16_e32 v77, v73, v75
	v_mul_f16_e32 v78, v76, v75
	v_fmac_f16_e32 v77, v76, v71
	ds_load_2addr_b32 v[75:76], v6 offset0:92 offset1:173
	v_fma_f16 v71, v73, v71, -v78
	v_lshrrev_b32_e32 v73, 16, v74
	s_wait_dscnt 0x0
	v_lshrrev_b32_e32 v112, 16, v75
	v_mul_f16_e32 v113, v75, v103
	s_delay_alu instid0(VALU_DEP_2) | instskip(NEXT) | instid1(VALU_DEP_2)
	v_mul_f16_e32 v103, v112, v103
	v_fmac_f16_e32 v113, v112, v72
	s_delay_alu instid0(VALU_DEP_2) | instskip(SKIP_3) | instid1(VALU_DEP_2)
	v_fma_f16 v72, v75, v72, -v103
	s_wait_loadcnt 0x0
	v_lshrrev_b32_e32 v75, 16, v18
	v_lshrrev_b32_e32 v103, 16, v19
	v_mul_f16_e32 v78, v73, v75
	s_delay_alu instid0(VALU_DEP_1) | instskip(SKIP_2) | instid1(VALU_DEP_2)
	v_fma_f16 v78, v74, v18, -v78
	v_mul_f16_e32 v74, v74, v75
	v_lshrrev_b32_e32 v75, 16, v76
	v_fmac_f16_e32 v74, v73, v18
	s_delay_alu instid0(VALU_DEP_2) | instskip(SKIP_3) | instid1(VALU_DEP_4)
	v_mul_f16_e32 v112, v75, v103
	v_mul_f16_e32 v103, v76, v103
	v_add_f16_e32 v18, v95, v32
	v_add_f16_e32 v73, v94, v95
	v_fma_f16 v76, v76, v19, -v112
	s_delay_alu instid0(VALU_DEP_4) | instskip(SKIP_4) | instid1(VALU_DEP_4)
	v_fmac_f16_e32 v103, v75, v19
	v_lshrrev_b32_e32 v19, 16, v94
	v_add_f16_e32 v75, v92, v98
	v_fmac_f16_e32 v94, -0.5, v18
	v_add_f16_e32 v73, v73, v32
	v_add_f16_e32 v18, v19, v92
	s_delay_alu instid0(VALU_DEP_4)
	v_fmac_f16_e32 v19, -0.5, v75
	v_sub_f16_e32 v75, v95, v32
	v_mad_i32_i24 v32, 0xffffffdc, v5, v23
	v_sub_f16_e32 v92, v92, v98
	v_add_f16_e32 v18, v18, v98
	v_add3_u32 v95, 0, v30, v31
	v_fmamk_f16 v30, v75, 0xbaee, v19
	ds_load_b32 v112, v32
	v_mad_i32_i24 v31, 0xffffffdc, v13, v22
	v_pack_b32_f16 v73, v73, v18
	v_fmamk_f16 v18, v92, 0x3aee, v94
	v_fmac_f16_e32 v94, 0xbaee, v92
	v_fmac_f16_e32 v19, 0x3aee, v75
	s_delay_alu instid0(VALU_DEP_3)
	v_pack_b32_f16 v98, v18, v30
	v_lshl_add_u32 v30, v4, 2, 0
	ds_load_b32 v114, v31
	ds_load_b32 v18, v30
	global_wb scope:SCOPE_SE
	s_wait_dscnt 0x0
	s_barrier_signal -1
	s_barrier_wait -1
	global_inv scope:SCOPE_SE
	ds_store_2addr_b32 v95, v73, v98 offset1:10
	v_add_f16_e32 v73, v97, v88
	v_lshrrev_b32_e32 v75, 16, v112
	v_pack_b32_f16 v19, v94, v19
	v_add_f16_e32 v92, v112, v97
	v_add_f16_e32 v94, v93, v87
	v_fmac_f16_e32 v112, -0.5, v73
	v_add_f16_e32 v73, v75, v93
	v_sub_f16_e32 v93, v93, v87
	s_delay_alu instid0(VALU_DEP_4) | instskip(NEXT) | instid1(VALU_DEP_3)
	v_fmac_f16_e32 v75, -0.5, v94
	v_add_f16_e32 v73, v73, v87
	v_sub_f16_e32 v87, v97, v88
	v_add_f16_e32 v88, v92, v88
	v_fmamk_f16 v92, v93, 0x3aee, v112
	v_fmac_f16_e32 v112, 0xbaee, v93
	s_delay_alu instid0(VALU_DEP_4) | instskip(SKIP_3) | instid1(VALU_DEP_4)
	v_fmamk_f16 v93, v87, 0xbaee, v75
	v_fmac_f16_e32 v75, 0x3aee, v87
	v_pack_b32_f16 v65, v88, v73
	v_add_f16_e32 v87, v69, v107
	v_pack_b32_f16 v73, v92, v93
	s_delay_alu instid0(VALU_DEP_4)
	v_pack_b32_f16 v75, v112, v75
	ds_store_b32 v95, v19 offset:80
	ds_store_2addr_b32 v57, v65, v73 offset1:10
	v_add_f16_e32 v19, v83, v85
	ds_store_b32 v57, v75 offset:80
	v_lshrrev_b32_e32 v57, 16, v114
	v_add_f16_e32 v65, v114, v83
	v_sub_f16_e32 v75, v99, v100
	v_fmac_f16_e32 v114, -0.5, v19
	v_add_f16_e32 v19, v99, v100
	v_add_f16_e32 v73, v57, v99
	;; [unrolled: 1-line block ×3, first 2 shown]
	s_delay_alu instid0(VALU_DEP_4) | instskip(NEXT) | instid1(VALU_DEP_4)
	v_fmamk_f16 v67, v75, 0x3aee, v114
	v_fmac_f16_e32 v57, -0.5, v19
	v_sub_f16_e32 v19, v83, v85
	v_add_f16_e32 v73, v73, v100
	v_fmac_f16_e32 v114, 0xbaee, v75
	v_lshrrev_b32_e32 v75, 16, v70
	v_sub_f16_e32 v85, v90, v89
	v_fmamk_f16 v83, v19, 0xbaee, v57
	v_fmac_f16_e32 v57, 0x3aee, v19
	v_pack_b32_f16 v19, v65, v73
	v_add_f16_e32 v65, v84, v86
	v_add_f16_e32 v73, v75, v90
	v_pack_b32_f16 v67, v67, v83
	v_add_f16_e32 v83, v70, v84
	v_pack_b32_f16 v57, v114, v57
	v_fmac_f16_e32 v70, -0.5, v65
	v_add_f16_e32 v65, v90, v89
	v_add_f16_e32 v73, v73, v89
	;; [unrolled: 1-line block ×3, first 2 shown]
	s_delay_alu instid0(VALU_DEP_3) | instskip(SKIP_1) | instid1(VALU_DEP_3)
	v_fmac_f16_e32 v75, -0.5, v65
	v_sub_f16_e32 v65, v84, v86
	v_pack_b32_f16 v66, v83, v73
	v_fmamk_f16 v73, v85, 0x3aee, v70
	v_lshrrev_b32_e32 v83, 16, v69
	v_fmac_f16_e32 v70, 0xbaee, v85
	v_add_f16_e32 v85, v107, v79
	v_add_f16_e32 v86, v91, v96
	v_fmamk_f16 v84, v65, 0xbaee, v75
	v_fmac_f16_e32 v75, 0x3aee, v65
	v_add_f16_e32 v65, v83, v91
	v_fmac_f16_e32 v69, -0.5, v85
	v_sub_f16_e32 v85, v91, v96
	v_fmac_f16_e32 v83, -0.5, v86
	v_sub_f16_e32 v86, v107, v79
	v_add_f16_e32 v65, v65, v96
	v_add_f16_e32 v79, v87, v79
	v_fmamk_f16 v87, v85, 0x3aee, v69
	v_pack_b32_f16 v73, v73, v84
	v_fmamk_f16 v88, v86, 0xbaee, v83
	v_pack_b32_f16 v70, v70, v75
	v_pack_b32_f16 v65, v79, v65
	v_fmac_f16_e32 v69, 0xbaee, v85
	v_fmac_f16_e32 v83, 0x3aee, v86
	v_pack_b32_f16 v68, v87, v88
	ds_store_2addr_b32 v61, v19, v67 offset1:10
	ds_store_b32 v61, v57 offset:80
	ds_store_2addr_b32 v62, v66, v73 offset1:10
	ds_store_b32 v62, v70 offset:80
	ds_store_2addr_b32 v64, v65, v68 offset1:10
	v_add_f16_e32 v19, v105, v80
	v_lshrrev_b32_e32 v57, 16, v63
	v_add_f16_e32 v61, v102, v104
	v_add_f16_e32 v62, v63, v105
	;; [unrolled: 1-line block ×3, first 2 shown]
	v_fmac_f16_e32 v63, -0.5, v19
	v_sub_f16_e32 v19, v102, v104
	v_add_f16_e32 v65, v57, v102
	v_fmac_f16_e32 v57, -0.5, v61
	v_sub_f16_e32 v61, v105, v80
	v_lshrrev_b32_e32 v68, 16, v54
	v_fmamk_f16 v66, v19, 0x3aee, v63
	v_fmac_f16_e32 v63, 0xbaee, v19
	v_add_f16_e32 v19, v65, v104
	v_fmamk_f16 v65, v61, 0xbaee, v57
	v_fmac_f16_e32 v57, 0x3aee, v61
	v_add_f16_e32 v61, v101, v108
	v_add_f16_e32 v70, v54, v109
	v_fmac_f16_e32 v54, -0.5, v67
	v_add_f16_e32 v67, v68, v101
	v_sub_f16_e32 v73, v101, v108
	v_fmac_f16_e32 v68, -0.5, v61
	v_add_f16_e32 v61, v70, v81
	v_pack_b32_f16 v69, v69, v83
	v_sub_f16_e32 v70, v109, v81
	v_fmamk_f16 v75, v73, 0x3aee, v54
	v_fmac_f16_e32 v54, 0xbaee, v73
	v_add_f16_e32 v73, v106, v111
	ds_store_b32 v64, v69 offset:80
	v_add_f16_e32 v64, v110, v82
	v_fmamk_f16 v69, v70, 0xbaee, v68
	v_fmac_f16_e32 v68, 0x3aee, v70
	v_lshrrev_b32_e32 v70, 16, v43
	v_add_f16_e32 v62, v62, v80
	v_add_f16_e32 v79, v43, v110
	v_fmac_f16_e32 v43, -0.5, v64
	v_sub_f16_e32 v64, v106, v111
	v_add_f16_e32 v80, v70, v106
	v_fmac_f16_e32 v70, -0.5, v73
	v_sub_f16_e32 v73, v110, v82
	v_add_f16_e32 v79, v79, v82
	v_fmamk_f16 v81, v64, 0x3aee, v43
	v_fmac_f16_e32 v43, 0xbaee, v64
	v_add_f16_e32 v64, v80, v111
	v_fmamk_f16 v80, v73, 0xbaee, v70
	v_add_f16_e32 v82, v71, v72
	v_fmac_f16_e32 v70, 0x3aee, v73
	v_lshrrev_b32_e32 v73, 16, v41
	v_add_f16_e32 v83, v77, v113
	v_add_f16_e32 v84, v41, v71
	v_fmac_f16_e32 v41, -0.5, v82
	v_sub_f16_e32 v82, v77, v113
	v_add_f16_e32 v77, v73, v77
	v_fmac_f16_e32 v73, -0.5, v83
	v_sub_f16_e32 v71, v71, v72
	v_add_f16_e32 v72, v84, v72
	v_fmamk_f16 v83, v82, 0x3aee, v41
	v_fmac_f16_e32 v41, 0xbaee, v82
	v_add_f16_e32 v84, v78, v76
	v_fmamk_f16 v82, v71, 0xbaee, v73
	v_fmac_f16_e32 v73, 0x3aee, v71
	v_lshrrev_b32_e32 v71, 16, v18
	v_add_f16_e32 v85, v74, v103
	v_add_f16_e32 v86, v18, v78
	;; [unrolled: 1-line block ×4, first 2 shown]
	v_fmac_f16_e32 v18, -0.5, v84
	v_sub_f16_e32 v84, v74, v103
	v_add_f16_e32 v74, v71, v74
	v_fmac_f16_e32 v71, -0.5, v85
	v_add_f16_e32 v85, v86, v76
	v_sub_f16_e32 v76, v78, v76
	v_pack_b32_f16 v19, v62, v19
	v_pack_b32_f16 v59, v66, v65
	;; [unrolled: 1-line block ×5, first 2 shown]
	v_fmamk_f16 v78, v84, 0x3aee, v18
	v_fmac_f16_e32 v18, 0xbaee, v84
	v_fmamk_f16 v84, v76, 0xbaee, v71
	v_fmac_f16_e32 v71, 0x3aee, v76
	ds_store_2addr_b32 v42, v19, v59 offset1:10
	ds_store_b32 v42, v57 offset:80
	ds_store_2addr_b32 v56, v60, v61 offset1:10
	v_pack_b32_f16 v19, v54, v68
	v_lshrrev_b16 v57, 12, v40
	v_pack_b32_f16 v17, v72, v77
	v_pack_b32_f16 v40, v83, v82
	v_add3_u32 v42, 0, v55, v58
	v_pack_b32_f16 v54, v79, v64
	v_pack_b32_f16 v55, v81, v80
	v_pack_b32_f16 v43, v43, v70
	v_add_f16_e32 v74, v74, v103
	ds_store_b32 v56, v19 offset:80
	ds_store_2addr_b32 v42, v54, v55 offset1:10
	ds_store_b32 v42, v43 offset:80
	ds_store_2addr_b32 v14, v17, v40 offset1:10
	v_pack_b32_f16 v17, v18, v71
	v_mul_lo_u16 v18, 0x89, v39
	v_pack_b32_f16 v41, v41, v73
	v_pack_b32_f16 v16, v85, v74
	;; [unrolled: 1-line block ×3, first 2 shown]
	v_mul_lo_u16 v19, v57, 30
	v_lshrrev_b16 v59, 12, v18
	ds_store_b32 v14, v41 offset:80
	ds_store_2addr_b32 v15, v16, v42 offset1:10
	ds_store_b32 v15, v17 offset:80
	v_mul_lo_u16 v17, 0x89, v20
	v_mul_lo_u16 v16, v59, 30
	v_sub_nc_u16 v19, v0, v19
	v_mul_u32_u24_e32 v18, 0x8889, v21
	global_wb scope:SCOPE_SE
	s_wait_dscnt 0x0
	v_lshrrev_b16 v62, 12, v17
	v_sub_nc_u16 v16, v5, v16
	v_and_b32_e32 v60, 0xff, v19
	v_lshrrev_b32_e32 v61, 20, v18
	s_barrier_signal -1
	s_barrier_wait -1
	v_and_b32_e32 v65, 0xff, v16
	v_mul_lo_u16 v16, v62, 30
	v_lshlrev_b32_e32 v14, 3, v60
	global_inv scope:SCOPE_SE
	v_mul_u32_u24_e32 v18, 0x8889, v37
	v_lshlrev_b32_e32 v17, 3, v65
	v_sub_nc_u16 v16, v13, v16
	global_load_b64 v[14:15], v14, s[4:5] offset:80
	v_and_b32_e32 v57, 0xffff, v57
	v_lshlrev_b32_e32 v60, 2, v60
	global_load_b64 v[66:67], v17, s[4:5] offset:80
	v_and_b32_e32 v64, 0xff, v16
	v_mul_lo_u16 v16, v61, 30
	v_mul_u32_u24_e32 v57, 0x168, v57
	v_and_b32_e32 v59, 0xffff, v59
	v_lshlrev_b32_e32 v65, 2, v65
	v_and_b32_e32 v62, 0xffff, v62
	v_sub_nc_u16 v19, v12, v16
	v_lshrrev_b32_e32 v16, 20, v18
	v_add3_u32 v57, 0, v57, v60
	v_mul_u32_u24_e32 v59, 0x168, v59
	v_mul_u32_u24_e32 v62, 0x168, v62
	v_and_b32_e32 v63, 0xffff, v19
	v_mul_u32_u24_e32 v19, 0x8889, v38
	v_mul_u32_u24_e32 v61, 0x168, v61
	v_add3_u32 v59, 0, v59, v65
	v_mul_lo_u16 v20, 0xb7, v20
	v_lshlrev_b32_e32 v18, 3, v63
	v_lshrrev_b32_e32 v42, 20, v19
	v_mul_u32_u24_e32 v19, 0x8889, v33
	v_lshlrev_b32_e32 v63, 2, v63
	v_mul_u32_u24_e32 v21, 0x2d83, v21
	global_load_b64 v[71:72], v18, s[4:5] offset:80
	v_lshlrev_b32_e32 v17, 3, v64
	v_lshrrev_b32_e32 v43, 20, v19
	v_mul_u32_u24_e32 v19, 0x8889, v34
	v_lshlrev_b32_e32 v64, 2, v64
	v_add3_u32 v61, 0, v61, v63
	global_load_b64 v[69:70], v17, s[4:5] offset:80
	v_mul_lo_u16 v17, v16, 30
	v_mul_u32_u24_e32 v16, 0x168, v16
	v_add3_u32 v62, 0, v62, v64
	s_delay_alu instid0(VALU_DEP_3) | instskip(NEXT) | instid1(VALU_DEP_1)
	v_sub_nc_u16 v17, v11, v17
	v_and_b32_e32 v54, 0xffff, v17
	v_mul_lo_u16 v17, v42, 30
	v_mul_u32_u24_e32 v42, 0x168, v42
	s_delay_alu instid0(VALU_DEP_3) | instskip(NEXT) | instid1(VALU_DEP_3)
	v_lshlrev_b32_e32 v18, 3, v54
	v_sub_nc_u16 v17, v10, v17
	v_lshlrev_b32_e32 v54, 2, v54
	global_load_b64 v[73:74], v18, s[4:5] offset:80
	v_and_b32_e32 v55, 0xffff, v17
	v_mul_lo_u16 v17, v43, 30
	v_add3_u32 v16, 0, v16, v54
	v_mul_u32_u24_e32 v43, 0x168, v43
	s_delay_alu instid0(VALU_DEP_4) | instskip(NEXT) | instid1(VALU_DEP_4)
	v_lshlrev_b32_e32 v18, 3, v55
	v_sub_nc_u16 v17, v9, v17
	v_lshlrev_b32_e32 v55, 2, v55
	global_load_b64 v[75:76], v18, s[4:5] offset:80
	v_and_b32_e32 v56, 0xffff, v17
	v_lshrrev_b32_e32 v18, 20, v19
	v_add3_u32 v42, 0, v42, v55
	s_delay_alu instid0(VALU_DEP_3) | instskip(NEXT) | instid1(VALU_DEP_3)
	v_lshlrev_b32_e32 v19, 3, v56
	v_mul_lo_u16 v17, v18, 30
	v_lshlrev_b32_e32 v56, 2, v56
	global_load_b64 v[77:78], v19, s[4:5] offset:80
	v_sub_nc_u16 v17, v8, v17
	s_delay_alu instid0(VALU_DEP_1) | instskip(NEXT) | instid1(VALU_DEP_1)
	v_and_b32_e32 v19, 0xffff, v17
	v_lshlrev_b32_e32 v17, 3, v19
	global_load_b64 v[79:80], v17, s[4:5] offset:80
	ds_load_2addr_b32 v[81:82], v49 offset0:42 offset1:123
	ds_load_2addr_b32 v[83:84], v48 offset0:84 offset1:165
	ds_load_u16 v91, v44 offset:3566
	ds_load_2addr_b32 v[85:86], v53 offset0:76 offset1:157
	ds_load_2addr_b32 v[87:88], v50 offset0:118 offset1:199
	ds_load_b32 v68, v29
	ds_load_b32 v58, v28
	;; [unrolled: 1-line block ×6, first 2 shown]
	s_wait_dscnt 0xa
	v_lshrrev_b32_e32 v90, 16, v81
	s_wait_dscnt 0x9
	v_lshrrev_b32_e32 v95, 16, v83
	v_lshrrev_b32_e32 v92, 16, v84
	s_wait_loadcnt 0x7
	v_lshrrev_b32_e32 v89, 16, v14
	v_lshrrev_b32_e32 v93, 16, v15
	s_wait_loadcnt 0x6
	v_lshrrev_b32_e32 v97, 16, v67
	s_delay_alu instid0(VALU_DEP_3) | instskip(SKIP_3) | instid1(VALU_DEP_4)
	v_mul_f16_e32 v94, v89, v90
	v_mul_f16_e32 v89, v89, v81
	v_mul_f16_e32 v96, v93, v95
	v_mul_f16_e32 v93, v93, v83
	v_fma_f16 v81, v14, v81, -v94
	v_lshrrev_b32_e32 v94, 16, v66
	v_fmac_f16_e32 v89, v14, v90
	v_fma_f16 v83, v15, v83, -v96
	v_fmac_f16_e32 v93, v15, v95
	v_mul_f16_e32 v95, v84, v97
	s_wait_dscnt 0x8
	v_mul_f16_e32 v14, v91, v94
	v_mul_f16_e32 v94, v94, v82
	s_wait_dscnt 0x6
	v_lshrrev_b32_e32 v96, 16, v87
	ds_load_b32 v90, v44
	v_fmac_f16_e32 v95, v92, v67
	v_fma_f16 v82, v66, v82, -v14
	v_mul_f16_e32 v14, v92, v97
	v_fmac_f16_e32 v94, v91, v66
	v_lshrrev_b32_e32 v66, 16, v85
	v_lshrrev_b32_e32 v97, 16, v86
	s_wait_loadcnt 0x5
	v_lshrrev_b32_e32 v100, 16, v71
	v_fma_f16 v84, v84, v67, -v14
	s_wait_loadcnt 0x4
	v_lshrrev_b32_e32 v15, 16, v69
	v_lshrrev_b32_e32 v92, 16, v70
	v_mul_f16_e32 v101, v97, v100
	v_mul_f16_e32 v100, v86, v100
	s_delay_alu instid0(VALU_DEP_4)
	v_mul_f16_e32 v91, v85, v15
	v_mul_f16_e32 v98, v66, v15
	ds_load_2addr_b32 v[14:15], v47 offset0:110 offset1:191
	v_mul_f16_e32 v99, v87, v92
	v_mul_f16_e32 v92, v96, v92
	v_fmac_f16_e32 v91, v66, v69
	ds_load_2addr_b32 v[66:67], v52 offset0:152 offset1:233
	v_fma_f16 v85, v85, v69, -v98
	v_lshrrev_b32_e32 v69, 16, v88
	v_lshrrev_b32_e32 v98, 16, v72
	v_fmac_f16_e32 v99, v96, v70
	v_fma_f16 v87, v87, v70, -v92
	v_fma_f16 v86, v86, v71, -v101
	v_fmac_f16_e32 v100, v97, v71
	v_mul_f16_e32 v70, v69, v98
	v_mul_f16_e32 v92, v88, v98
	s_wait_loadcnt 0x3
	v_lshrrev_b32_e32 v71, 16, v73
	v_lshrrev_b32_e32 v96, 16, v74
	v_fma_f16 v88, v88, v72, -v70
	v_fmac_f16_e32 v92, v69, v72
	s_wait_dscnt 0x1
	v_lshrrev_b32_e32 v70, 16, v14
	v_mul_f16_e32 v97, v14, v71
	v_lshrrev_b32_e32 v102, 16, v15
	s_wait_dscnt 0x0
	v_lshrrev_b32_e32 v72, 16, v66
	v_mul_f16_e32 v101, v70, v71
	v_fmac_f16_e32 v97, v70, v73
	ds_load_2addr_b32 v[69:70], v46 offset0:16 offset1:97
	v_mul_f16_e32 v98, v66, v96
	v_mul_f16_e32 v96, v72, v96
	s_wait_loadcnt 0x2
	v_lshrrev_b32_e32 v103, 16, v75
	v_lshrrev_b32_e32 v104, 16, v67
	;; [unrolled: 1-line block ×3, first 2 shown]
	v_fmac_f16_e32 v98, v72, v74
	ds_load_2addr_b32 v[71:72], v45 offset0:58 offset1:139
	v_fma_f16 v101, v14, v73, -v101
	v_mul_f16_e32 v14, v102, v103
	v_fma_f16 v96, v66, v74, -v96
	v_mul_u32_u24_e32 v66, 0x8889, v35
	v_mul_f16_e32 v73, v104, v105
	v_mul_f16_e32 v103, v15, v103
	v_fma_f16 v106, v15, v75, -v14
	v_mul_f16_e32 v105, v67, v105
	v_lshrrev_b32_e32 v14, 20, v66
	v_fma_f16 v107, v67, v76, -v73
	s_wait_loadcnt 0x1
	v_lshrrev_b32_e32 v15, 16, v77
	v_fmac_f16_e32 v103, v102, v75
	s_wait_dscnt 0x1
	v_lshrrev_b32_e32 v66, 16, v69
	v_mul_lo_u16 v67, v14, 30
	v_lshrrev_b32_e32 v73, 16, v78
	v_mul_f16_e32 v102, v69, v15
	v_fmac_f16_e32 v105, v104, v76
	v_mul_f16_e32 v74, v66, v15
	v_sub_nc_u16 v15, v7, v67
	s_wait_dscnt 0x0
	v_lshrrev_b32_e32 v67, 16, v71
	v_mul_f16_e32 v104, v71, v73
	v_fmac_f16_e32 v102, v66, v77
	v_lshrrev_b32_e32 v75, 16, v70
	v_and_b32_e32 v15, 0xffff, v15
	v_mul_f16_e32 v66, v67, v73
	s_wait_loadcnt 0x0
	v_lshrrev_b32_e32 v76, 16, v79
	v_fma_f16 v77, v69, v77, -v74
	v_fmac_f16_e32 v104, v67, v78
	v_lshlrev_b32_e32 v73, 3, v15
	v_fma_f16 v78, v71, v78, -v66
	v_mul_f16_e32 v67, v75, v76
	v_lshrrev_b32_e32 v69, 16, v72
	v_lshrrev_b32_e32 v66, 16, v80
	global_load_b64 v[73:74], v73, s[4:5] offset:80
	v_mul_f16_e32 v109, v70, v76
	v_fma_f16 v108, v70, v79, -v67
	v_mul_u32_u24_e32 v14, 0x168, v14
	v_mul_f16_e32 v67, v69, v66
	v_mul_f16_e32 v110, v72, v66
	v_mul_u32_u24_e32 v66, 0x8889, v36
	v_fmac_f16_e32 v109, v75, v79
	v_lshlrev_b32_e32 v15, 2, v15
	v_fma_f16 v111, v72, v80, -v67
	v_fmac_f16_e32 v110, v69, v80
	v_lshrrev_b32_e32 v66, 20, v66
	ds_load_2addr_b32 v[71:72], v51 offset0:50 offset1:131
	v_mul_lo_u16 v67, v66, 30
	s_delay_alu instid0(VALU_DEP_1) | instskip(NEXT) | instid1(VALU_DEP_1)
	v_sub_nc_u16 v67, v4, v67
	v_and_b32_e32 v67, 0xffff, v67
	s_delay_alu instid0(VALU_DEP_1)
	v_lshlrev_b32_e32 v70, 3, v67
	s_wait_dscnt 0x0
	v_lshrrev_b32_e32 v76, 16, v71
	global_load_b64 v[69:70], v70, s[4:5] offset:80
	s_wait_loadcnt 0x1
	v_lshrrev_b32_e32 v75, 16, v73
	v_lshrrev_b32_e32 v112, 16, v74
	s_delay_alu instid0(VALU_DEP_2) | instskip(SKIP_1) | instid1(VALU_DEP_2)
	v_mul_f16_e32 v79, v71, v75
	v_mul_f16_e32 v80, v76, v75
	v_fmac_f16_e32 v79, v76, v73
	ds_load_2addr_b32 v[75:76], v6 offset0:92 offset1:173
	v_fma_f16 v71, v71, v73, -v80
	s_wait_dscnt 0x0
	v_lshrrev_b32_e32 v113, 16, v75
	v_mul_f16_e32 v114, v75, v112
	s_delay_alu instid0(VALU_DEP_2) | instskip(NEXT) | instid1(VALU_DEP_2)
	v_mul_f16_e32 v112, v113, v112
	v_fmac_f16_e32 v114, v113, v74
	s_delay_alu instid0(VALU_DEP_2) | instskip(SKIP_4) | instid1(VALU_DEP_2)
	v_fma_f16 v73, v75, v74, -v112
	v_lshrrev_b32_e32 v74, 16, v72
	s_wait_loadcnt 0x0
	v_lshrrev_b32_e32 v75, 16, v69
	v_lshrrev_b32_e32 v112, 16, v70
	v_mul_f16_e32 v80, v74, v75
	s_delay_alu instid0(VALU_DEP_1) | instskip(SKIP_2) | instid1(VALU_DEP_2)
	v_fma_f16 v80, v72, v69, -v80
	v_mul_f16_e32 v72, v72, v75
	v_lshrrev_b32_e32 v75, 16, v76
	v_fmac_f16_e32 v72, v74, v69
	s_delay_alu instid0(VALU_DEP_2) | instskip(SKIP_3) | instid1(VALU_DEP_4)
	v_mul_f16_e32 v113, v75, v112
	v_mul_f16_e32 v112, v76, v112
	v_add_f16_e32 v69, v81, v83
	v_add_f16_e32 v74, v90, v81
	v_fma_f16 v76, v76, v70, -v113
	s_delay_alu instid0(VALU_DEP_4) | instskip(SKIP_4) | instid1(VALU_DEP_4)
	v_fmac_f16_e32 v112, v75, v70
	v_lshrrev_b32_e32 v70, 16, v90
	v_fmac_f16_e32 v90, -0.5, v69
	v_add_f16_e32 v75, v89, v93
	v_add_f16_e32 v74, v74, v83
	;; [unrolled: 1-line block ×3, first 2 shown]
	v_sub_f16_e32 v89, v89, v93
	s_delay_alu instid0(VALU_DEP_4) | instskip(SKIP_1) | instid1(VALU_DEP_4)
	v_fmac_f16_e32 v70, -0.5, v75
	v_sub_f16_e32 v75, v81, v83
	v_add_f16_e32 v69, v69, v93
	s_delay_alu instid0(VALU_DEP_4) | instskip(SKIP_1) | instid1(VALU_DEP_4)
	v_fmamk_f16 v81, v89, 0x3aee, v90
	v_fmac_f16_e32 v90, 0xbaee, v89
	v_fmamk_f16 v83, v75, 0xbaee, v70
	v_fmac_f16_e32 v70, 0x3aee, v75
	v_pack_b32_f16 v60, v74, v69
	ds_load_b32 v74, v32
	ds_load_b32 v75, v30
	v_sub_f16_e32 v93, v94, v95
	v_pack_b32_f16 v69, v81, v83
	v_pack_b32_f16 v70, v90, v70
	v_add_f16_e32 v81, v82, v84
	v_add_f16_e32 v90, v94, v95
	s_wait_dscnt 0x1
	v_lshrrev_b32_e32 v83, 16, v74
	v_add_f16_e32 v89, v74, v82
	v_fmac_f16_e32 v74, -0.5, v81
	v_sub_f16_e32 v82, v82, v84
	s_delay_alu instid0(VALU_DEP_4) | instskip(SKIP_3) | instid1(VALU_DEP_4)
	v_add_f16_e32 v81, v83, v94
	v_fmac_f16_e32 v83, -0.5, v90
	v_add_f16_e32 v89, v89, v84
	v_add_f16_e32 v90, v17, v71
	;; [unrolled: 1-line block ×3, first 2 shown]
	s_delay_alu instid0(VALU_DEP_4)
	v_fmamk_f16 v84, v82, 0xbaee, v83
	v_fmac_f16_e32 v83, 0x3aee, v82
	ds_load_b32 v82, v31
	global_wb scope:SCOPE_SE
	s_wait_dscnt 0x0
	v_pack_b32_f16 v65, v89, v81
	v_fmamk_f16 v81, v93, 0x3aee, v74
	s_barrier_signal -1
	s_barrier_wait -1
	global_inv scope:SCOPE_SE
	v_fmac_f16_e32 v74, 0xbaee, v93
	v_pack_b32_f16 v81, v81, v84
	ds_store_2addr_b32 v57, v60, v69 offset1:30
	ds_store_b32 v57, v70 offset:240
	ds_store_2addr_b32 v59, v65, v81 offset1:30
	v_add_f16_e32 v57, v85, v87
	v_pack_b32_f16 v60, v74, v83
	v_sub_f16_e32 v74, v91, v99
	v_add_f16_e32 v89, v79, v114
	ds_store_b32 v59, v60 offset:240
	v_add_f16_e32 v59, v101, v96
	v_lshrrev_b32_e32 v65, 16, v82
	v_add_f16_e32 v69, v82, v85
	v_fmac_f16_e32 v82, -0.5, v57
	v_add_f16_e32 v57, v91, v99
	v_add_f16_e32 v60, v97, v98
	;; [unrolled: 1-line block ×4, first 2 shown]
	v_fmamk_f16 v64, v74, 0x3aee, v82
	v_fmac_f16_e32 v65, -0.5, v57
	v_sub_f16_e32 v57, v85, v87
	v_add_f16_e32 v70, v70, v99
	v_fmac_f16_e32 v82, 0xbaee, v74
	v_add_f16_e32 v85, v39, v108
	v_add_f16_e32 v91, v72, v112
	v_fmamk_f16 v81, v57, 0xbaee, v65
	v_fmac_f16_e32 v65, 0x3aee, v57
	v_lshrrev_b32_e32 v57, 16, v68
	v_pack_b32_f16 v69, v69, v70
	v_add_f16_e32 v70, v86, v88
	v_pack_b32_f16 v64, v64, v81
	v_add_f16_e32 v81, v100, v92
	;; [unrolled: 2-line block ×3, first 2 shown]
	v_add_f16_e32 v82, v68, v86
	v_fmac_f16_e32 v68, -0.5, v70
	v_sub_f16_e32 v70, v100, v92
	v_fmac_f16_e32 v57, -0.5, v81
	v_sub_f16_e32 v81, v86, v88
	v_add_f16_e32 v74, v74, v92
	v_add_f16_e32 v82, v82, v88
	v_fmamk_f16 v83, v70, 0x3aee, v68
	v_fmac_f16_e32 v68, 0xbaee, v70
	v_fmamk_f16 v84, v81, 0xbaee, v57
	v_fmac_f16_e32 v57, 0x3aee, v81
	v_pack_b32_f16 v63, v82, v74
	v_add_f16_e32 v74, v77, v78
	v_add_f16_e32 v81, v102, v104
	v_pack_b32_f16 v70, v83, v84
	v_pack_b32_f16 v57, v68, v57
	ds_store_2addr_b32 v62, v69, v64 offset1:30
	ds_store_b32 v62, v65 offset:240
	ds_store_2addr_b32 v61, v63, v70 offset1:30
	v_add_f16_e32 v64, v106, v107
	v_add_f16_e32 v65, v103, v105
	ds_store_b32 v61, v57 offset:240
	v_lshrrev_b32_e32 v57, 16, v58
	v_add_f16_e32 v61, v58, v101
	v_fmac_f16_e32 v58, -0.5, v59
	v_sub_f16_e32 v59, v97, v98
	v_add_f16_e32 v68, v41, v106
	v_add_f16_e32 v62, v57, v97
	v_fmac_f16_e32 v57, -0.5, v60
	v_sub_f16_e32 v60, v101, v96
	v_fmamk_f16 v63, v59, 0x3aee, v58
	v_fmac_f16_e32 v58, 0xbaee, v59
	v_add_f16_e32 v59, v62, v98
	v_add_f16_e32 v82, v40, v77
	v_fmamk_f16 v62, v60, 0xbaee, v57
	v_fmac_f16_e32 v57, 0x3aee, v60
	v_lshrrev_b32_e32 v60, 16, v41
	v_fmac_f16_e32 v41, -0.5, v64
	v_sub_f16_e32 v64, v103, v105
	v_sub_f16_e32 v77, v77, v78
	v_add_f16_e32 v78, v82, v78
	v_add_f16_e32 v69, v60, v103
	v_fmac_f16_e32 v60, -0.5, v65
	v_sub_f16_e32 v65, v106, v107
	v_fmamk_f16 v70, v64, 0x3aee, v41
	v_fmac_f16_e32 v41, 0xbaee, v64
	v_add_f16_e32 v64, v69, v105
	v_add_f16_e32 v84, v109, v110
	v_fmamk_f16 v69, v65, 0xbaee, v60
	v_fmac_f16_e32 v60, 0x3aee, v65
	v_lshrrev_b32_e32 v65, 16, v40
	v_fmac_f16_e32 v40, -0.5, v74
	v_sub_f16_e32 v74, v102, v104
	v_add_f16_e32 v61, v61, v96
	v_add_f16_e32 v88, v71, v73
	;; [unrolled: 1-line block ×3, first 2 shown]
	v_fmac_f16_e32 v65, -0.5, v81
	v_fmamk_f16 v81, v74, 0x3aee, v40
	v_fmac_f16_e32 v40, 0xbaee, v74
	v_add_f16_e32 v68, v68, v107
	v_add_f16_e32 v74, v83, v104
	v_fmamk_f16 v82, v77, 0xbaee, v65
	v_add_f16_e32 v83, v108, v111
	v_fmac_f16_e32 v65, 0x3aee, v77
	v_lshrrev_b32_e32 v77, 16, v39
	v_pack_b32_f16 v54, v61, v59
	v_pack_b32_f16 v59, v63, v62
	v_fmac_f16_e32 v39, -0.5, v83
	v_sub_f16_e32 v83, v109, v110
	v_add_f16_e32 v86, v77, v109
	v_fmac_f16_e32 v77, -0.5, v84
	v_sub_f16_e32 v84, v108, v111
	v_sub_f16_e32 v71, v71, v73
	v_fmamk_f16 v87, v83, 0x3aee, v39
	v_fmac_f16_e32 v39, 0xbaee, v83
	v_add_f16_e32 v83, v86, v110
	v_fmamk_f16 v86, v84, 0xbaee, v77
	v_fmac_f16_e32 v77, 0x3aee, v84
	v_lshrrev_b32_e32 v84, 16, v17
	v_fmac_f16_e32 v17, -0.5, v88
	v_sub_f16_e32 v88, v79, v114
	v_pack_b32_f16 v57, v58, v57
	v_pack_b32_f16 v55, v68, v64
	v_add_f16_e32 v79, v84, v79
	v_fmac_f16_e32 v84, -0.5, v89
	v_pack_b32_f16 v58, v70, v69
	ds_store_2addr_b32 v16, v54, v59 offset1:30
	ds_store_b32 v16, v57 offset:240
	ds_store_2addr_b32 v42, v55, v58 offset1:30
	v_pack_b32_f16 v16, v41, v60
	v_add_f16_e32 v73, v90, v73
	v_fmamk_f16 v89, v88, 0x3aee, v17
	v_fmac_f16_e32 v17, 0xbaee, v88
	v_fmamk_f16 v88, v71, 0xbaee, v84
	v_add_f16_e32 v90, v80, v76
	v_fmac_f16_e32 v84, 0x3aee, v71
	v_lshrrev_b32_e32 v71, 16, v75
	v_add_f16_e32 v92, v75, v80
	v_add_f16_e32 v85, v85, v111
	ds_store_b32 v42, v16 offset:240
	v_mul_u32_u24_e32 v16, 0x168, v18
	v_lshlrev_b32_e32 v18, 2, v19
	v_fmac_f16_e32 v75, -0.5, v90
	v_sub_f16_e32 v90, v72, v112
	v_add_f16_e32 v72, v71, v72
	v_fmac_f16_e32 v71, -0.5, v91
	v_add_f16_e32 v91, v92, v76
	v_sub_f16_e32 v76, v80, v76
	v_add3_u32 v41, 0, v43, v56
	v_pack_b32_f16 v43, v78, v74
	v_pack_b32_f16 v54, v81, v82
	v_add_f16_e32 v79, v79, v114
	v_pack_b32_f16 v40, v40, v65
	v_add3_u32 v16, 0, v16, v18
	v_pack_b32_f16 v18, v85, v83
	v_pack_b32_f16 v19, v87, v86
	v_fmamk_f16 v80, v90, 0x3aee, v75
	v_fmac_f16_e32 v75, 0xbaee, v90
	v_add_f16_e32 v72, v72, v112
	v_fmamk_f16 v90, v76, 0xbaee, v71
	ds_store_2addr_b32 v41, v43, v54 offset1:30
	ds_store_b32 v41, v40 offset:240
	v_pack_b32_f16 v39, v39, v77
	v_mul_u32_u24_e32 v41, 0x168, v66
	v_lshlrev_b32_e32 v42, 2, v67
	v_fmac_f16_e32 v71, 0x3aee, v76
	v_add3_u32 v40, 0, v14, v15
	v_pack_b32_f16 v14, v73, v79
	v_pack_b32_f16 v15, v89, v88
	ds_store_2addr_b32 v16, v18, v19 offset1:30
	ds_store_b32 v16, v39 offset:240
	ds_store_2addr_b32 v40, v14, v15 offset1:30
	v_pack_b32_f16 v16, v17, v84
	v_add3_u32 v17, 0, v41, v42
	v_pack_b32_f16 v18, v91, v72
	v_pack_b32_f16 v19, v80, v90
	;; [unrolled: 1-line block ×3, first 2 shown]
	ds_store_b32 v40, v16 offset:240
	ds_store_2addr_b32 v17, v18, v19 offset1:30
	ds_store_b32 v17, v39 offset:240
	v_dual_mov_b32 v15, 0 :: v_dual_add_nc_u32 v18, -9, v0
	v_lshlrev_b32_e32 v14, 1, v0
	v_lshrrev_b16 v58, 14, v20
	v_lshrrev_b32_e32 v55, 20, v21
	s_wait_alu 0xf1ff
	v_cndmask_b32_e64 v56, v18, v5, s0
	v_mov_b32_e32 v19, v15
	v_lshlrev_b64_e32 v[16:17], 2, v[14:15]
	v_mul_lo_u16 v20, 0x5a, v58
	global_wb scope:SCOPE_SE
	s_wait_dscnt 0x0
	v_lshlrev_b32_e32 v18, 1, v56
	s_barrier_signal -1
	s_barrier_wait -1
	v_add_co_u32 v16, s0, s4, v16
	s_delay_alu instid0(VALU_DEP_2)
	v_lshlrev_b64_e32 v[18:19], 2, v[18:19]
	s_wait_alu 0xf1ff
	v_add_co_ci_u32_e64 v17, s0, s5, v17, s0
	global_inv scope:SCOPE_SE
	v_sub_nc_u16 v20, v13, v20
	v_lshlrev_b32_e32 v56, 2, v56
	v_add_co_u32 v18, s0, s4, v18
	s_wait_alu 0xf1ff
	v_add_co_ci_u32_e64 v19, s0, s5, v19, s0
	global_load_b64 v[64:65], v[16:17], off offset:320
	v_and_b32_e32 v61, 0xff, v20
	v_cmp_lt_u32_e64 s0, 8, v0
	global_load_b64 v[66:67], v[18:19], off offset:320
	v_mul_lo_u16 v18, 0x5a, v55
	v_mul_u32_u24_e32 v19, 0x2d83, v37
	v_lshlrev_b32_e32 v20, 3, v61
	v_and_b32_e32 v58, 0xffff, v58
	v_lshlrev_b32_e32 v61, 2, v61
	v_sub_nc_u16 v18, v12, v18
	v_lshrrev_b32_e32 v39, 20, v19
	global_load_b64 v[68:69], v20, s[4:5] offset:320
	v_mul_u32_u24_e32 v58, 0x438, v58
	v_mul_u32_u24_e32 v55, 0x438, v55
	v_and_b32_e32 v59, 0xffff, v18
	v_mul_u32_u24_e32 v18, 0x2d83, v38
	v_mul_lo_u16 v19, 0x5a, v39
	v_add3_u32 v58, 0, v58, v61
	v_mul_u32_u24_e32 v39, 0x438, v39
	v_lshlrev_b32_e32 v21, 3, v59
	v_lshrrev_b32_e32 v20, 20, v18
	v_sub_nc_u16 v18, v11, v19
	v_lshlrev_b32_e32 v59, 2, v59
	global_load_b64 v[70:71], v21, s[4:5] offset:320
	v_mul_lo_u16 v19, 0x5a, v20
	v_and_b32_e32 v60, 0xffff, v18
	v_add3_u32 v55, 0, v55, v59
	v_mul_u32_u24_e32 v20, 0x438, v20
	s_delay_alu instid0(VALU_DEP_4) | instskip(NEXT) | instid1(VALU_DEP_4)
	v_sub_nc_u16 v18, v10, v19
	v_lshlrev_b32_e32 v19, 3, v60
	v_lshlrev_b32_e32 v60, 2, v60
	s_delay_alu instid0(VALU_DEP_3)
	v_and_b32_e32 v37, 0xffff, v18
	global_load_b64 v[72:73], v19, s[4:5] offset:320
	v_mul_u32_u24_e32 v18, 0x2d83, v33
	v_add3_u32 v39, 0, v39, v60
	v_mul_u32_u24_e32 v33, 0x795d, v33
	v_lshlrev_b32_e32 v19, 3, v37
	v_lshlrev_b32_e32 v37, 2, v37
	v_lshrrev_b32_e32 v21, 20, v18
	s_delay_alu instid0(VALU_DEP_4) | instskip(SKIP_4) | instid1(VALU_DEP_2)
	v_lshrrev_b32_e32 v33, 23, v33
	global_load_b64 v[74:75], v19, s[4:5] offset:320
	v_add3_u32 v20, 0, v20, v37
	v_mul_lo_u16 v18, 0x5a, v21
	v_mul_u32_u24_e32 v21, 0x438, v21
	v_sub_nc_u16 v38, v9, v18
	s_delay_alu instid0(VALU_DEP_1) | instskip(NEXT) | instid1(VALU_DEP_1)
	v_and_b32_e32 v38, 0xffff, v38
	v_lshlrev_b32_e32 v40, 3, v38
	v_lshlrev_b32_e32 v38, 2, v38
	global_load_b64 v[76:77], v40, s[4:5] offset:320
	v_mul_u32_u24_e32 v19, 0x2d83, v34
	v_mul_u32_u24_e32 v34, 0x795d, v34
	s_delay_alu instid0(VALU_DEP_2) | instskip(NEXT) | instid1(VALU_DEP_2)
	v_lshrrev_b32_e32 v18, 20, v19
	v_lshrrev_b32_e32 v34, 23, v34
	s_delay_alu instid0(VALU_DEP_2) | instskip(SKIP_1) | instid1(VALU_DEP_3)
	v_mul_lo_u16 v19, 0x5a, v18
	v_mul_u32_u24_e32 v18, 0x438, v18
	v_mul_lo_u16 v34, 0x10e, v34
	s_delay_alu instid0(VALU_DEP_3) | instskip(NEXT) | instid1(VALU_DEP_2)
	v_sub_nc_u16 v19, v8, v19
	v_sub_nc_u16 v34, v8, v34
	s_delay_alu instid0(VALU_DEP_2) | instskip(NEXT) | instid1(VALU_DEP_2)
	v_and_b32_e32 v19, 0xffff, v19
	v_and_b32_e32 v34, 0xffff, v34
	s_delay_alu instid0(VALU_DEP_2)
	v_lshlrev_b32_e32 v40, 3, v19
	v_lshlrev_b32_e32 v19, 2, v19
	global_load_b64 v[78:79], v40, s[4:5] offset:320
	v_mul_u32_u24_e32 v40, 0x2d83, v35
	v_add3_u32 v18, 0, v18, v19
	v_mul_u32_u24_e32 v35, 0x795d, v35
	s_delay_alu instid0(VALU_DEP_3) | instskip(NEXT) | instid1(VALU_DEP_2)
	v_lshrrev_b32_e32 v40, 20, v40
	v_lshrrev_b32_e32 v35, 23, v35
	s_delay_alu instid0(VALU_DEP_2) | instskip(SKIP_1) | instid1(VALU_DEP_3)
	v_mul_lo_u16 v41, 0x5a, v40
	v_mul_u32_u24_e32 v40, 0x438, v40
	v_mul_lo_u16 v35, 0x10e, v35
	s_delay_alu instid0(VALU_DEP_3) | instskip(NEXT) | instid1(VALU_DEP_2)
	v_sub_nc_u16 v41, v7, v41
	v_sub_nc_u16 v35, v7, v35
	s_delay_alu instid0(VALU_DEP_2) | instskip(NEXT) | instid1(VALU_DEP_2)
	v_and_b32_e32 v42, 0xffff, v41
	v_and_b32_e32 v35, 0xffff, v35
	s_delay_alu instid0(VALU_DEP_2) | instskip(SKIP_4) | instid1(VALU_DEP_2)
	v_lshlrev_b32_e32 v41, 3, v42
	v_lshlrev_b32_e32 v42, 2, v42
	global_load_b64 v[80:81], v41, s[4:5] offset:320
	v_mul_u32_u24_e32 v41, 0x2d83, v36
	v_mul_u32_u24_e32 v36, 0x795d, v36
	v_lshrrev_b32_e32 v41, 20, v41
	s_delay_alu instid0(VALU_DEP_2) | instskip(NEXT) | instid1(VALU_DEP_2)
	v_lshrrev_b32_e32 v36, 23, v36
	v_mul_lo_u16 v41, 0x5a, v41
	s_delay_alu instid0(VALU_DEP_2) | instskip(NEXT) | instid1(VALU_DEP_2)
	v_mul_lo_u16 v36, 0x10e, v36
	v_sub_nc_u16 v41, v4, v41
	s_delay_alu instid0(VALU_DEP_2) | instskip(NEXT) | instid1(VALU_DEP_2)
	v_sub_nc_u16 v36, v4, v36
	v_and_b32_e32 v41, 0xffff, v41
	s_delay_alu instid0(VALU_DEP_2) | instskip(NEXT) | instid1(VALU_DEP_2)
	v_and_b32_e32 v36, 0xffff, v36
	v_lshlrev_b32_e32 v43, 3, v41
	global_load_b64 v[82:83], v43, s[4:5] offset:320
	ds_load_2addr_b32 v[84:85], v48 offset0:84 offset1:165
	ds_load_2addr_b32 v[86:87], v49 offset0:42 offset1:123
	;; [unrolled: 1-line block ×4, first 2 shown]
	ds_load_u16 v94, v44 offset:3566
	ds_load_b32 v98, v29
	ds_load_b32 v63, v28
	;; [unrolled: 1-line block ×6, first 2 shown]
	s_wait_dscnt 0xa
	v_lshrrev_b32_e32 v97, 16, v84
	s_wait_dscnt 0x9
	v_lshrrev_b32_e32 v96, 16, v86
	v_lshrrev_b32_e32 v92, 16, v85
	s_wait_dscnt 0x7
	v_lshrrev_b32_e32 v104, 16, v91
	s_wait_loadcnt 0x9
	v_lshrrev_b32_e32 v93, 16, v64
	v_lshrrev_b32_e32 v95, 16, v65
	s_wait_loadcnt 0x8
	v_lshrrev_b32_e32 v101, 16, v66
	s_delay_alu instid0(VALU_DEP_3) | instskip(SKIP_3) | instid1(VALU_DEP_4)
	v_mul_f16_e32 v99, v93, v96
	v_mul_f16_e32 v93, v93, v86
	;; [unrolled: 1-line block ×4, first 2 shown]
	v_fma_f16 v86, v64, v86, -v99
	s_delay_alu instid0(VALU_DEP_4) | instskip(NEXT) | instid1(VALU_DEP_4)
	v_fmac_f16_e32 v93, v64, v96
	v_fma_f16 v84, v65, v84, -v100
	s_delay_alu instid0(VALU_DEP_4)
	v_fmac_f16_e32 v95, v65, v97
	s_wait_dscnt 0x6
	v_mul_f16_e32 v64, v94, v101
	v_lshrrev_b32_e32 v65, 16, v67
	v_mul_f16_e32 v97, v101, v87
	s_wait_loadcnt 0x7
	v_lshrrev_b32_e32 v102, 16, v68
	v_lshrrev_b32_e32 v99, 16, v88
	v_fma_f16 v87, v66, v87, -v64
	v_mul_f16_e32 v64, v92, v65
	v_mul_f16_e32 v101, v85, v65
	v_fmac_f16_e32 v97, v94, v66
	v_lshrrev_b32_e32 v100, 16, v90
	v_lshrrev_b32_e32 v103, 16, v69
	v_fma_f16 v85, v85, v67, -v64
	v_fmac_f16_e32 v101, v92, v67
	ds_load_2addr_b32 v[64:65], v47 offset0:110 offset1:191
	ds_load_2addr_b32 v[66:67], v52 offset0:152 offset1:233
	v_mul_f16_e32 v92, v88, v102
	v_lshrrev_b32_e32 v94, 16, v89
	v_mul_f16_e32 v102, v99, v102
	s_wait_loadcnt 0x6
	v_lshrrev_b32_e32 v105, 16, v70
	v_lshrrev_b32_e32 v106, 16, v71
	v_fmac_f16_e32 v92, v99, v68
	v_mul_f16_e32 v99, v90, v103
	v_mul_f16_e32 v103, v100, v103
	v_fma_f16 v88, v88, v68, -v102
	v_mul_f16_e32 v68, v94, v105
	v_mul_f16_e32 v102, v89, v105
	v_fmac_f16_e32 v99, v100, v69
	v_mul_f16_e32 v100, v104, v106
	v_fma_f16 v90, v90, v69, -v103
	v_mul_f16_e32 v103, v91, v106
	v_fma_f16 v89, v89, v70, -v68
	s_wait_loadcnt 0x5
	v_lshrrev_b32_e32 v68, 16, v72
	v_fma_f16 v91, v91, v71, -v100
	v_fmac_f16_e32 v102, v94, v70
	v_fmac_f16_e32 v103, v104, v71
	s_wait_dscnt 0x1
	v_lshrrev_b32_e32 v69, 16, v64
	v_lshrrev_b32_e32 v70, 16, v73
	s_wait_dscnt 0x0
	v_lshrrev_b32_e32 v71, 16, v66
	v_mul_f16_e32 v94, v64, v68
	v_lshrrev_b32_e32 v100, 16, v65
	s_wait_loadcnt 0x4
	v_lshrrev_b32_e32 v104, 16, v74
	v_mul_f16_e32 v105, v66, v70
	v_mul_f16_e32 v68, v69, v68
	;; [unrolled: 1-line block ×3, first 2 shown]
	v_fmac_f16_e32 v94, v69, v72
	v_mul_f16_e32 v106, v100, v104
	v_fmac_f16_e32 v105, v71, v73
	v_fma_f16 v72, v64, v72, -v68
	v_fma_f16 v73, v66, v73, -v70
	ds_load_2addr_b32 v[68:69], v46 offset0:16 offset1:97
	ds_load_2addr_b32 v[70:71], v45 offset0:58 offset1:139
	v_fma_f16 v106, v65, v74, -v106
	v_mul_f16_e32 v104, v65, v104
	v_lshrrev_b32_e32 v64, 16, v67
	v_lshrrev_b32_e32 v65, 16, v75
	ds_load_b32 v96, v44
	v_add_f16_e32 v111, v97, v101
	v_fmac_f16_e32 v104, v100, v74
	v_mul_f16_e32 v66, v64, v65
	v_mul_f16_e32 v107, v67, v65
	s_wait_loadcnt 0x3
	v_lshrrev_b32_e32 v65, 16, v76
	s_delay_alu instid0(VALU_DEP_3)
	v_fma_f16 v108, v67, v75, -v66
	v_lshrrev_b32_e32 v66, 16, v77
	v_fmac_f16_e32 v107, v64, v75
	s_wait_dscnt 0x2
	v_lshrrev_b32_e32 v64, 16, v68
	v_mul_f16_e32 v74, v68, v65
	s_wait_dscnt 0x1
	v_lshrrev_b32_e32 v67, 16, v70
	v_mul_f16_e32 v75, v70, v66
	v_mul_f16_e32 v65, v64, v65
	v_fmac_f16_e32 v74, v64, v76
	s_delay_alu instid0(VALU_DEP_4) | instskip(NEXT) | instid1(VALU_DEP_4)
	v_mul_f16_e32 v64, v67, v66
	v_fmac_f16_e32 v75, v67, v77
	v_lshrrev_b32_e32 v66, 16, v69
	v_fma_f16 v68, v68, v76, -v65
	s_delay_alu instid0(VALU_DEP_4) | instskip(SKIP_2) | instid1(VALU_DEP_2)
	v_fma_f16 v70, v70, v77, -v64
	s_wait_loadcnt 0x2
	v_lshrrev_b32_e32 v67, 16, v78
	v_sub_f16_e32 v60, v68, v70
	s_delay_alu instid0(VALU_DEP_2) | instskip(NEXT) | instid1(VALU_DEP_1)
	v_mul_f16_e32 v64, v66, v67
	v_fma_f16 v76, v69, v78, -v64
	v_mul_f16_e32 v69, v69, v67
	v_lshrrev_b32_e32 v67, 16, v71
	v_lshrrev_b32_e32 v64, 16, v79
	s_delay_alu instid0(VALU_DEP_3) | instskip(NEXT) | instid1(VALU_DEP_2)
	v_fmac_f16_e32 v69, v66, v78
	v_mul_f16_e32 v65, v67, v64
	v_mul_f16_e32 v77, v71, v64
	s_delay_alu instid0(VALU_DEP_2)
	v_fma_f16 v71, v71, v79, -v65
	ds_load_2addr_b32 v[64:65], v51 offset0:50 offset1:131
	v_fmac_f16_e32 v77, v67, v79
	s_wait_loadcnt 0x1
	v_lshrrev_b32_e32 v66, 16, v80
	v_lshrrev_b32_e32 v100, 16, v81
	s_wait_dscnt 0x0
	v_lshrrev_b32_e32 v67, 16, v64
	s_delay_alu instid0(VALU_DEP_3) | instskip(NEXT) | instid1(VALU_DEP_2)
	v_mul_f16_e32 v78, v64, v66
	v_mul_f16_e32 v79, v67, v66
	s_delay_alu instid0(VALU_DEP_2)
	v_fmac_f16_e32 v78, v67, v80
	ds_load_2addr_b32 v[66:67], v6 offset0:92 offset1:173
	v_fma_f16 v79, v64, v80, -v79
	v_lshrrev_b32_e32 v80, 16, v65
	s_wait_loadcnt 0x0
	v_lshrrev_b32_e32 v64, 16, v82
	s_wait_dscnt 0x0
	v_lshrrev_b32_e32 v109, 16, v66
	v_mul_f16_e32 v110, v66, v100
	s_delay_alu instid0(VALU_DEP_2) | instskip(NEXT) | instid1(VALU_DEP_2)
	v_mul_f16_e32 v100, v109, v100
	v_fmac_f16_e32 v110, v109, v81
	s_delay_alu instid0(VALU_DEP_2) | instskip(SKIP_2) | instid1(VALU_DEP_2)
	v_fma_f16 v66, v66, v81, -v100
	v_mul_f16_e32 v81, v80, v64
	v_lshrrev_b32_e32 v100, 16, v67
	v_fma_f16 v81, v65, v82, -v81
	v_mul_f16_e32 v65, v65, v64
	v_lshrrev_b32_e32 v64, 16, v83
	s_delay_alu instid0(VALU_DEP_2) | instskip(NEXT) | instid1(VALU_DEP_2)
	v_fmac_f16_e32 v65, v80, v82
	v_mul_f16_e32 v109, v100, v64
	v_mul_f16_e32 v64, v67, v64
	v_add_f16_e32 v80, v86, v84
	v_lshrrev_b32_e32 v82, 16, v96
	s_delay_alu instid0(VALU_DEP_4) | instskip(NEXT) | instid1(VALU_DEP_4)
	v_fma_f16 v67, v67, v83, -v109
	v_fmac_f16_e32 v64, v100, v83
	v_add_f16_e32 v83, v96, v86
	v_fmac_f16_e32 v96, -0.5, v80
	v_add_f16_e32 v80, v82, v93
	v_add_f16_e32 v100, v93, v95
	v_sub_f16_e32 v93, v93, v95
	v_add_f16_e32 v83, v83, v84
	v_sub_f16_e32 v84, v86, v84
	v_add_f16_e32 v80, v80, v95
	v_fmac_f16_e32 v82, -0.5, v100
	v_add_f16_e32 v95, v87, v85
	s_delay_alu instid0(VALU_DEP_3) | instskip(SKIP_1) | instid1(VALU_DEP_4)
	v_pack_b32_f16 v80, v83, v80
	v_fmamk_f16 v83, v93, 0x3aee, v96
	v_fmamk_f16 v86, v84, 0xbaee, v82
	v_fmac_f16_e32 v96, 0xbaee, v93
	ds_load_b32 v93, v31
	v_fmac_f16_e32 v82, 0x3aee, v84
	ds_load_b32 v84, v30
	v_pack_b32_f16 v83, v83, v86
	ds_load_b32 v86, v32
	global_wb scope:SCOPE_SE
	s_wait_dscnt 0x0
	v_pack_b32_f16 v82, v96, v82
	s_barrier_signal -1
	s_barrier_wait -1
	global_inv scope:SCOPE_SE
	v_lshrrev_b32_e32 v100, 16, v86
	v_add_f16_e32 v109, v86, v87
	v_fmac_f16_e32 v86, -0.5, v95
	s_delay_alu instid0(VALU_DEP_3) | instskip(SKIP_2) | instid1(VALU_DEP_3)
	v_add_f16_e32 v95, v100, v97
	v_sub_f16_e32 v97, v97, v101
	v_fmac_f16_e32 v100, -0.5, v111
	v_add_f16_e32 v95, v95, v101
	v_add_f16_e32 v101, v109, v85
	v_sub_f16_e32 v85, v87, v85
	s_wait_alu 0xf1ff
	v_cndmask_b32_e64 v87, 0, 0x438, s0
	s_delay_alu instid0(VALU_DEP_2) | instskip(NEXT) | instid1(VALU_DEP_2)
	v_fmamk_f16 v96, v85, 0xbaee, v100
	v_add3_u32 v56, 0, v87, v56
	v_pack_b32_f16 v87, v101, v95
	v_fmamk_f16 v95, v97, 0x3aee, v86
	v_fmac_f16_e32 v86, 0xbaee, v97
	v_fmac_f16_e32 v100, 0x3aee, v85
	v_add_f16_e32 v85, v93, v88
	s_delay_alu instid0(VALU_DEP_4)
	v_pack_b32_f16 v95, v95, v96
	ds_store_2addr_b32 v44, v80, v83 offset1:90
	ds_store_b32 v44, v82 offset:720
	ds_store_2addr_b32 v56, v87, v95 offset1:90
	v_add_f16_e32 v80, v88, v90
	v_lshrrev_b32_e32 v83, 16, v93
	v_pack_b32_f16 v82, v86, v100
	v_sub_f16_e32 v87, v92, v99
	v_add_f16_e32 v85, v85, v90
	v_fmac_f16_e32 v93, -0.5, v80
	v_add_f16_e32 v80, v92, v99
	v_add_f16_e32 v86, v83, v92
	ds_store_b32 v56, v82 offset:720
	v_add_f16_e32 v82, v62, v106
	v_fmamk_f16 v61, v87, 0x3aee, v93
	v_fmac_f16_e32 v83, -0.5, v80
	v_sub_f16_e32 v80, v88, v90
	v_add_f16_e32 v86, v86, v99
	v_fmac_f16_e32 v93, 0xbaee, v87
	v_add_f16_e32 v90, v98, v89
	v_add_f16_e32 v82, v82, v108
	v_fmamk_f16 v88, v80, 0xbaee, v83
	v_fmac_f16_e32 v83, 0x3aee, v80
	v_lshrrev_b32_e32 v80, 16, v98
	v_pack_b32_f16 v85, v85, v86
	v_add_f16_e32 v86, v89, v91
	v_pack_b32_f16 v61, v61, v88
	v_add_f16_e32 v88, v102, v103
	v_add_f16_e32 v87, v80, v102
	v_pack_b32_f16 v83, v93, v83
	v_fmac_f16_e32 v98, -0.5, v86
	v_sub_f16_e32 v86, v102, v103
	v_fmac_f16_e32 v80, -0.5, v88
	v_sub_f16_e32 v88, v89, v91
	v_add_f16_e32 v89, v90, v91
	v_add_f16_e32 v87, v87, v103
	v_fmamk_f16 v90, v86, 0x3aee, v98
	v_fmac_f16_e32 v98, 0xbaee, v86
	v_fmamk_f16 v91, v88, 0xbaee, v80
	v_fmac_f16_e32 v80, 0x3aee, v88
	v_pack_b32_f16 v59, v89, v87
	v_add_f16_e32 v88, v74, v75
	v_add_f16_e32 v87, v57, v68
	v_pack_b32_f16 v86, v90, v91
	v_pack_b32_f16 v56, v98, v80
	ds_store_2addr_b32 v58, v85, v61 offset1:90
	ds_store_b32 v58, v83 offset:720
	ds_store_2addr_b32 v55, v59, v86 offset1:90
	v_add_f16_e32 v58, v72, v73
	v_add_f16_e32 v59, v63, v72
	ds_store_b32 v55, v56 offset:720
	v_lshrrev_b32_e32 v55, 16, v63
	v_add_f16_e32 v56, v94, v105
	v_fmac_f16_e32 v63, -0.5, v58
	v_sub_f16_e32 v58, v94, v105
	v_add_f16_e32 v59, v59, v73
	v_add_f16_e32 v61, v55, v94
	v_fmac_f16_e32 v55, -0.5, v56
	v_sub_f16_e32 v56, v72, v73
	v_fmamk_f16 v72, v58, 0x3aee, v63
	v_fmac_f16_e32 v63, 0xbaee, v58
	v_add_f16_e32 v58, v61, v105
	v_add_f16_e32 v73, v106, v108
	v_fmamk_f16 v61, v56, 0xbaee, v55
	v_fmac_f16_e32 v55, 0x3aee, v56
	v_lshrrev_b32_e32 v56, 16, v62
	v_add_f16_e32 v80, v104, v107
	v_fmac_f16_e32 v62, -0.5, v73
	v_sub_f16_e32 v73, v104, v107
	v_add_f16_e32 v86, v68, v70
	v_add_f16_e32 v83, v56, v104
	v_fmac_f16_e32 v56, -0.5, v80
	v_sub_f16_e32 v80, v106, v108
	v_fmamk_f16 v85, v73, 0x3aee, v62
	v_fmac_f16_e32 v62, 0xbaee, v73
	v_add_f16_e32 v73, v83, v107
	v_pack_b32_f16 v58, v59, v58
	v_fmamk_f16 v83, v80, 0xbaee, v56
	v_fmac_f16_e32 v56, 0x3aee, v80
	v_lshrrev_b32_e32 v80, 16, v57
	v_fmac_f16_e32 v57, -0.5, v86
	v_pack_b32_f16 v59, v72, v61
	v_add_f16_e32 v87, v87, v70
	v_add_f16_e32 v70, v69, v77
	;; [unrolled: 1-line block ×3, first 2 shown]
	v_fmac_f16_e32 v80, -0.5, v88
	ds_store_2addr_b32 v39, v58, v59 offset1:90
	v_add_f16_e32 v58, v76, v71
	v_sub_f16_e32 v74, v74, v75
	v_add_f16_e32 v72, v54, v76
	v_fmamk_f16 v59, v60, 0xbaee, v80
	v_fmac_f16_e32 v80, 0x3aee, v60
	v_lshrrev_b32_e32 v60, 16, v54
	v_fmac_f16_e32 v54, -0.5, v58
	v_sub_f16_e32 v58, v69, v77
	v_fmamk_f16 v61, v74, 0x3aee, v57
	v_fmac_f16_e32 v57, 0xbaee, v74
	v_add_f16_e32 v69, v60, v69
	v_fmac_f16_e32 v60, -0.5, v70
	v_sub_f16_e32 v70, v76, v71
	v_add_f16_e32 v68, v86, v75
	v_add_f16_e32 v71, v72, v71
	v_fmamk_f16 v72, v58, 0x3aee, v54
	v_fmac_f16_e32 v54, 0xbaee, v58
	v_add_f16_e32 v58, v69, v77
	v_fmamk_f16 v69, v70, 0xbaee, v60
	v_add_f16_e32 v74, v79, v66
	v_fmac_f16_e32 v60, 0x3aee, v70
	v_lshrrev_b32_e32 v70, 16, v43
	v_add_f16_e32 v75, v78, v110
	v_add_f16_e32 v76, v43, v79
	v_fmac_f16_e32 v43, -0.5, v74
	v_sub_f16_e32 v74, v78, v110
	v_add_f16_e32 v77, v70, v78
	v_fmac_f16_e32 v70, -0.5, v75
	v_sub_f16_e32 v75, v79, v66
	v_add_f16_e32 v66, v76, v66
	v_fmamk_f16 v76, v74, 0x3aee, v43
	v_fmac_f16_e32 v43, 0xbaee, v74
	v_add_f16_e32 v74, v77, v110
	v_fmamk_f16 v77, v75, 0xbaee, v70
	v_add_f16_e32 v78, v81, v67
	v_fmac_f16_e32 v70, 0x3aee, v75
	v_lshrrev_b32_e32 v75, 16, v84
	v_add_f16_e32 v79, v65, v64
	v_add_f16_e32 v86, v84, v81
	v_pack_b32_f16 v55, v63, v55
	v_pack_b32_f16 v37, v82, v73
	;; [unrolled: 1-line block ×4, first 2 shown]
	v_fmac_f16_e32 v84, -0.5, v78
	v_sub_f16_e32 v78, v65, v64
	v_add_f16_e32 v65, v75, v65
	v_fmac_f16_e32 v75, -0.5, v79
	v_add_f16_e32 v79, v86, v67
	v_sub_f16_e32 v67, v81, v67
	ds_store_b32 v39, v55 offset:720
	ds_store_2addr_b32 v20, v37, v63 offset1:90
	ds_store_b32 v20, v56 offset:720
	v_add3_u32 v20, 0, v21, v38
	v_pack_b32_f16 v21, v87, v68
	v_pack_b32_f16 v37, v61, v59
	;; [unrolled: 1-line block ×5, first 2 shown]
	v_fmamk_f16 v81, v78, 0x3aee, v84
	v_add_f16_e32 v64, v65, v64
	v_fmamk_f16 v65, v67, 0xbaee, v75
	ds_store_2addr_b32 v20, v21, v37 offset1:90
	ds_store_b32 v20, v38 offset:720
	ds_store_2addr_b32 v18, v19, v39 offset1:90
	v_lshl_add_u32 v37, v41, 2, 0
	v_fmac_f16_e32 v84, 0xbaee, v78
	v_fmac_f16_e32 v75, 0x3aee, v67
	v_pack_b32_f16 v19, v54, v60
	v_add3_u32 v20, 0, v40, v42
	v_pack_b32_f16 v21, v66, v74
	v_pack_b32_f16 v38, v76, v77
	;; [unrolled: 1-line block ×5, first 2 shown]
	v_add_nc_u32_e32 v42, 0x2000, v37
	v_pack_b32_f16 v43, v84, v75
	ds_store_b32 v18, v19 offset:720
	ds_store_2addr_b32 v20, v21, v38 offset1:90
	ds_store_b32 v20, v39 offset:720
	ds_store_2addr_b32 v42, v40, v41 offset0:112 offset1:202
	ds_store_b32 v37, v43 offset:9360
	v_dual_mov_b32 v19, v15 :: v_dual_lshlrev_b32 v18, 1, v5
	v_subrev_nc_u32_e32 v37, 27, v0
	global_wb scope:SCOPE_SE
	s_wait_dscnt 0x0
	s_barrier_signal -1
	s_barrier_wait -1
	v_lshlrev_b64_e32 v[18:19], 2, v[18:19]
	global_inv scope:SCOPE_SE
	global_load_b64 v[55:56], v[16:17], off offset:1040
	v_dual_mov_b32 v21, v15 :: v_dual_lshlrev_b32 v20, 1, v13
	v_mov_b32_e32 v39, v15
	v_add_co_u32 v18, s0, s4, v18
	s_wait_alu 0xf1ff
	v_add_co_ci_u32_e64 v19, s0, s5, v19, s0
	v_cmp_gt_u32_e64 s0, 27, v0
	v_lshlrev_b64_e32 v[20:21], 2, v[20:21]
	v_add_nc_u32_e32 v40, 0x6c, v14
	global_load_b64 v[57:58], v[18:19], off offset:1040
	v_mov_b32_e32 v41, v15
	s_wait_alu 0xf1ff
	v_cndmask_b32_e64 v37, v37, v12, s0
	v_add_nc_u32_e32 v14, 0x10e, v14
	v_add_co_u32 v20, s0, s4, v20
	s_wait_alu 0xf1ff
	v_add_co_ci_u32_e64 v21, s0, s5, v21, s0
	v_lshlrev_b32_e32 v38, 1, v37
	v_lshlrev_b32_e32 v37, 2, v37
	global_load_b64 v[59:60], v[20:21], off offset:1040
	v_lshlrev_b64_e32 v[38:39], 2, v[38:39]
	s_delay_alu instid0(VALU_DEP_1) | instskip(SKIP_1) | instid1(VALU_DEP_2)
	v_add_co_u32 v38, s0, s4, v38
	s_wait_alu 0xf1ff
	v_add_co_ci_u32_e64 v39, s0, s5, v39, s0
	global_load_b64 v[61:62], v[38:39], off offset:1040
	v_lshlrev_b64_e32 v[38:39], 2, v[40:41]
	s_delay_alu instid0(VALU_DEP_1) | instskip(SKIP_1) | instid1(VALU_DEP_2)
	v_add_co_u32 v38, s0, s4, v38
	s_wait_alu 0xf1ff
	v_add_co_ci_u32_e64 v39, s0, s5, v39, s0
	global_load_b64 v[63:64], v[38:39], off offset:1040
	v_lshlrev_b64_e32 v[38:39], 2, v[14:15]
	v_mul_lo_u16 v14, 0x10e, v33
	v_mul_u32_u24_e32 v33, 0xca8, v33
	s_delay_alu instid0(VALU_DEP_3) | instskip(SKIP_1) | instid1(VALU_DEP_4)
	v_add_co_u32 v38, s0, s4, v38
	s_wait_alu 0xf1ff
	v_add_co_ci_u32_e64 v39, s0, s5, v39, s0
	v_sub_nc_u16 v14, v9, v14
	v_cmp_lt_u32_e64 s0, 26, v0
	global_load_b64 v[65:66], v[38:39], off offset:1040
	v_and_b32_e32 v14, 0xffff, v14
	s_delay_alu instid0(VALU_DEP_1)
	v_lshlrev_b32_e32 v38, 3, v14
	v_lshlrev_b32_e32 v14, 2, v14
	global_load_b64 v[67:68], v38, s[4:5] offset:1040
	v_lshlrev_b32_e32 v38, 3, v34
	v_add3_u32 v14, 0, v33, v14
	global_load_b64 v[69:70], v38, s[4:5] offset:1040
	v_lshlrev_b32_e32 v38, 3, v35
	v_lshl_add_u32 v35, v35, 2, 0
	global_load_b64 v[71:72], v38, s[4:5] offset:1040
	v_lshlrev_b32_e32 v38, 3, v36
	v_lshl_add_u32 v36, v36, 2, 0
	global_load_b64 v[73:74], v38, s[4:5] offset:1040
	ds_load_2addr_b32 v[75:76], v48 offset0:84 offset1:165
	ds_load_2addr_b32 v[77:78], v49 offset0:42 offset1:123
	ds_load_u16 v84, v44 offset:3566
	ds_load_b32 v54, v29
	ds_load_b32 v42, v28
	ds_load_b32 v41, v27
	ds_load_b32 v40, v26
	ds_load_b32 v39, v25
	ds_load_b32 v38, v24
	ds_load_2addr_b32 v[79:80], v53 offset0:76 offset1:157
	s_wait_dscnt 0x9
	v_lshrrev_b32_e32 v43, 16, v76
	s_wait_dscnt 0x8
	v_lshrrev_b32_e32 v85, 16, v77
	v_lshrrev_b32_e32 v87, 16, v75
	s_wait_dscnt 0x0
	v_lshrrev_b32_e32 v92, 16, v80
	s_wait_loadcnt 0x9
	v_lshrrev_b32_e32 v81, 16, v55
	v_lshrrev_b32_e32 v83, 16, v56
	s_delay_alu instid0(VALU_DEP_2)
	v_mul_f16_e32 v86, v81, v77
	v_mul_f16_e32 v90, v81, v85
	ds_load_2addr_b32 v[81:82], v50 offset0:118 offset1:199
	v_mul_f16_e32 v88, v83, v75
	v_mul_f16_e32 v83, v83, v87
	v_fmac_f16_e32 v86, v55, v85
	s_wait_loadcnt 0x8
	v_lshrrev_b32_e32 v85, 16, v58
	v_lshrrev_b32_e32 v89, 16, v57
	v_fma_f16 v77, v55, v77, -v90
	v_fmac_f16_e32 v88, v56, v87
	v_fma_f16 v75, v56, v75, -v83
	v_mul_f16_e32 v55, v43, v85
	v_mul_f16_e32 v91, v84, v89
	;; [unrolled: 1-line block ×4, first 2 shown]
	ds_load_b32 v87, v44
	v_fma_f16 v76, v76, v58, -v55
	s_wait_loadcnt 0x7
	v_lshrrev_b32_e32 v89, 16, v59
	ds_load_2addr_b32 v[55:56], v47 offset0:110 offset1:191
	v_fma_f16 v78, v57, v78, -v91
	v_fmac_f16_e32 v83, v84, v57
	v_lshrrev_b32_e32 v57, 16, v79
	v_fmac_f16_e32 v85, v43, v58
	v_lshrrev_b32_e32 v43, 16, v60
	v_mul_f16_e32 v84, v79, v89
	s_wait_dscnt 0x2
	v_lshrrev_b32_e32 v90, 16, v81
	v_mul_f16_e32 v89, v57, v89
	v_lshrrev_b32_e32 v94, 16, v82
	v_mul_f16_e32 v91, v81, v43
	v_fmac_f16_e32 v84, v57, v59
	ds_load_2addr_b32 v[57:58], v52 offset0:152 offset1:233
	v_mul_f16_e32 v43, v90, v43
	s_wait_loadcnt 0x6
	v_lshrrev_b32_e32 v93, 16, v61
	v_fmac_f16_e32 v91, v90, v60
	v_fma_f16 v79, v79, v59, -v89
	v_lshrrev_b32_e32 v95, 16, v62
	v_fma_f16 v81, v81, v60, -v43
	v_mul_f16_e32 v90, v92, v93
	v_mul_f16_e32 v89, v80, v93
	s_wait_dscnt 0x1
	v_lshrrev_b32_e32 v96, 16, v56
	v_mul_f16_e32 v43, v94, v95
	v_fma_f16 v80, v80, v61, -v90
	v_fmac_f16_e32 v89, v92, v61
	v_lshrrev_b32_e32 v61, 16, v55
	v_mul_f16_e32 v90, v82, v95
	s_wait_loadcnt 0x5
	v_lshrrev_b32_e32 v59, 16, v63
	v_fma_f16 v82, v82, v62, -v43
	v_lshrrev_b32_e32 v43, 16, v64
	v_fmac_f16_e32 v90, v94, v62
	s_delay_alu instid0(VALU_DEP_4)
	v_mul_f16_e32 v92, v55, v59
	v_mul_f16_e32 v93, v61, v59
	ds_load_2addr_b32 v[59:60], v46 offset0:16 offset1:97
	s_wait_dscnt 0x1
	v_lshrrev_b32_e32 v94, 16, v57
	v_mul_f16_e32 v95, v57, v43
	v_fmac_f16_e32 v92, v61, v63
	ds_load_2addr_b32 v[61:62], v45 offset0:58 offset1:139
	v_lshrrev_b32_e32 v98, 16, v58
	v_mul_f16_e32 v43, v94, v43
	s_wait_loadcnt 0x4
	v_lshrrev_b32_e32 v99, 16, v66
	v_lshrrev_b32_e32 v97, 16, v65
	v_fmac_f16_e32 v95, v94, v64
	v_fma_f16 v63, v55, v63, -v93
	v_fma_f16 v64, v57, v64, -v43
	v_mul_f16_e32 v43, v98, v99
	v_mul_f16_e32 v100, v96, v97
	;; [unrolled: 1-line block ×4, first 2 shown]
	v_add_f16_e32 v105, v42, v63
	v_fma_f16 v99, v58, v66, -v43
	v_fma_f16 v93, v56, v65, -v100
	s_wait_loadcnt 0x3
	v_lshrrev_b32_e32 v55, 16, v67
	s_wait_dscnt 0x1
	v_lshrrev_b32_e32 v43, 16, v59
	v_fmac_f16_e32 v94, v96, v65
	v_fmac_f16_e32 v97, v98, v66
	v_lshrrev_b32_e32 v57, 16, v68
	v_mul_f16_e32 v65, v59, v55
	v_mul_f16_e32 v66, v43, v55
	ds_load_2addr_b32 v[55:56], v51 offset0:50 offset1:131
	s_wait_dscnt 0x1
	v_lshrrev_b32_e32 v96, 16, v61
	v_mul_f16_e32 v98, v61, v57
	v_fmac_f16_e32 v65, v43, v67
	v_lshrrev_b32_e32 v43, 16, v60
	s_wait_loadcnt 0x2
	v_lshrrev_b32_e32 v100, 16, v69
	v_mul_f16_e32 v101, v96, v57
	ds_load_2addr_b32 v[57:58], v6 offset0:92 offset1:173
	v_lshrrev_b32_e32 v102, 16, v62
	v_lshrrev_b32_e32 v103, 16, v70
	v_mul_f16_e32 v104, v43, v100
	v_fmac_f16_e32 v98, v96, v68
	v_fma_f16 v59, v59, v67, -v66
	v_fma_f16 v61, v61, v68, -v101
	v_mul_f16_e32 v66, v102, v103
	v_fma_f16 v67, v60, v69, -v104
	s_wait_loadcnt 0x1
	v_lshrrev_b32_e32 v68, 16, v71
	v_mul_f16_e32 v60, v60, v100
	v_mul_f16_e32 v96, v62, v103
	v_fma_f16 v62, v62, v70, -v66
	s_wait_dscnt 0x1
	v_lshrrev_b32_e32 v66, 16, v55
	v_mul_f16_e32 v100, v55, v68
	v_fmac_f16_e32 v60, v43, v69
	v_lshrrev_b32_e32 v43, 16, v72
	v_fmac_f16_e32 v96, v102, v70
	v_mul_f16_e32 v68, v66, v68
	v_fmac_f16_e32 v100, v66, v71
	s_wait_dscnt 0x0
	v_lshrrev_b32_e32 v66, 16, v57
	v_mul_f16_e32 v69, v57, v43
	v_lshrrev_b32_e32 v70, 16, v56
	s_wait_loadcnt 0x0
	v_lshrrev_b32_e32 v101, 16, v73
	v_lshrrev_b32_e32 v102, 16, v58
	;; [unrolled: 1-line block ×3, first 2 shown]
	v_mul_f16_e32 v43, v66, v43
	v_fmac_f16_e32 v69, v66, v72
	v_mul_f16_e32 v66, v70, v101
	v_fma_f16 v55, v55, v71, -v68
	v_mul_f16_e32 v68, v102, v103
	v_mul_f16_e32 v71, v56, v101
	v_fma_f16 v57, v57, v72, -v43
	v_fma_f16 v56, v56, v73, -v66
	v_mul_f16_e32 v66, v58, v103
	v_fma_f16 v58, v58, v74, -v68
	ds_load_b32 v68, v32
	v_fmac_f16_e32 v71, v70, v73
	v_lshrrev_b32_e32 v70, 16, v87
	v_add_f16_e32 v72, v86, v88
	v_add_f16_e32 v73, v87, v77
	;; [unrolled: 1-line block ×3, first 2 shown]
	v_fmac_f16_e32 v66, v102, v74
	v_add_f16_e32 v74, v70, v86
	v_fmac_f16_e32 v70, -0.5, v72
	v_add_f16_e32 v72, v73, v75
	v_sub_f16_e32 v73, v77, v75
	ds_load_b32 v77, v31
	v_fmac_f16_e32 v87, -0.5, v43
	v_sub_f16_e32 v43, v86, v88
	v_add_f16_e32 v74, v74, v88
	v_fmamk_f16 v86, v73, 0xbaee, v70
	v_fmac_f16_e32 v70, 0x3aee, v73
	v_add_f16_e32 v73, v78, v76
	v_add_f16_e32 v101, v83, v85
	v_fmamk_f16 v75, v43, 0x3aee, v87
	s_wait_dscnt 0x1
	v_lshrrev_b32_e32 v88, 16, v68
	v_add_f16_e32 v102, v68, v78
	v_fmac_f16_e32 v68, -0.5, v73
	v_sub_f16_e32 v73, v83, v85
	v_sub_f16_e32 v78, v78, v76
	v_add_f16_e32 v83, v88, v83
	v_fmac_f16_e32 v88, -0.5, v101
	v_fmac_f16_e32 v87, 0xbaee, v43
	ds_load_b32 v43, v30
	v_add_f16_e32 v76, v102, v76
	v_fmamk_f16 v101, v73, 0x3aee, v68
	v_fmac_f16_e32 v68, 0xbaee, v73
	v_add_f16_e32 v73, v83, v85
	v_fmamk_f16 v83, v78, 0xbaee, v88
	v_add_f16_e32 v85, v79, v81
	v_fmac_f16_e32 v88, 0x3aee, v78
	s_wait_dscnt 0x1
	v_lshrrev_b32_e32 v78, 16, v77
	v_add_f16_e32 v102, v84, v91
	v_add_f16_e32 v103, v77, v79
	v_fmac_f16_e32 v77, -0.5, v85
	v_sub_f16_e32 v85, v84, v91
	v_add_f16_e32 v84, v78, v84
	v_fmac_f16_e32 v78, -0.5, v102
	v_sub_f16_e32 v79, v79, v81
	v_add_f16_e32 v81, v103, v81
	v_fmamk_f16 v102, v85, 0x3aee, v77
	v_fmac_f16_e32 v77, 0xbaee, v85
	v_add_f16_e32 v84, v84, v91
	v_fmamk_f16 v85, v79, 0xbaee, v78
	v_add_f16_e32 v91, v80, v82
	v_fmac_f16_e32 v78, 0x3aee, v79
	v_lshrrev_b32_e32 v79, 16, v54
	v_add_f16_e32 v103, v89, v90
	v_add_f16_e32 v104, v54, v80
	v_fmac_f16_e32 v54, -0.5, v91
	v_sub_f16_e32 v91, v89, v90
	v_add_f16_e32 v89, v79, v89
	v_fmac_f16_e32 v79, -0.5, v103
	v_sub_f16_e32 v80, v80, v82
	v_add_f16_e32 v82, v104, v82
	v_fmamk_f16 v103, v91, 0x3aee, v54
	v_fmac_f16_e32 v54, 0xbaee, v91
	v_add_f16_e32 v89, v89, v90
	v_fmamk_f16 v90, v80, 0xbaee, v79
	v_add_f16_e32 v91, v63, v64
	v_fmac_f16_e32 v79, 0x3aee, v80
	v_lshrrev_b32_e32 v80, 16, v42
	v_add_f16_e32 v104, v92, v95
	v_sub_f16_e32 v63, v63, v64
	v_fmac_f16_e32 v42, -0.5, v91
	v_sub_f16_e32 v91, v92, v95
	v_add_f16_e32 v92, v80, v92
	v_fmac_f16_e32 v80, -0.5, v104
	v_add_f16_e32 v64, v105, v64
	v_add_f16_e32 v105, v94, v97
	v_fmamk_f16 v104, v91, 0x3aee, v42
	v_fmac_f16_e32 v42, 0xbaee, v91
	v_add_f16_e32 v91, v92, v95
	v_fmamk_f16 v92, v63, 0xbaee, v80
	v_add_f16_e32 v95, v93, v99
	v_fmac_f16_e32 v80, 0x3aee, v63
	v_lshrrev_b32_e32 v63, 16, v41
	v_add_f16_e32 v106, v41, v93
	v_sub_f16_e32 v93, v93, v99
	v_fmac_f16_e32 v41, -0.5, v95
	v_sub_f16_e32 v95, v94, v97
	v_add_f16_e32 v94, v63, v94
	v_fmac_f16_e32 v63, -0.5, v105
	v_add_f16_e32 v105, v106, v99
	v_add_f16_e32 v106, v40, v59
	v_fmamk_f16 v99, v95, 0x3aee, v41
	v_fmac_f16_e32 v41, 0xbaee, v95
	v_add_f16_e32 v94, v94, v97
	v_add_f16_e32 v95, v59, v61
	v_fmamk_f16 v97, v93, 0xbaee, v63
	v_fmac_f16_e32 v63, 0x3aee, v93
	v_lshrrev_b32_e32 v93, 16, v40
	v_sub_f16_e32 v59, v59, v61
	v_fmac_f16_e32 v40, -0.5, v95
	v_add_f16_e32 v95, v65, v98
	v_pack_b32_f16 v70, v87, v70
	v_add_f16_e32 v107, v93, v65
	v_sub_f16_e32 v65, v65, v98
	v_pack_b32_f16 v73, v76, v73
	v_fmac_f16_e32 v93, -0.5, v95
	v_add_f16_e32 v95, v106, v61
	v_pack_b32_f16 v68, v68, v88
	v_fmamk_f16 v61, v65, 0x3aee, v40
	v_fmac_f16_e32 v40, 0xbaee, v65
	v_add_f16_e32 v65, v107, v98
	v_add_f16_e32 v98, v67, v62
	v_fmamk_f16 v106, v59, 0xbaee, v93
	v_fmac_f16_e32 v93, 0x3aee, v59
	v_lshrrev_b32_e32 v59, 16, v39
	v_add_f16_e32 v107, v39, v67
	v_fmac_f16_e32 v39, -0.5, v98
	v_sub_f16_e32 v98, v60, v96
	global_wb scope:SCOPE_SE
	s_wait_dscnt 0x0
	s_barrier_signal -1
	s_barrier_wait -1
	global_inv scope:SCOPE_SE
	v_fmamk_f16 v108, v98, 0x3aee, v39
	v_fmac_f16_e32 v39, 0xbaee, v98
	v_add_f16_e32 v98, v59, v60
	v_add_f16_e32 v60, v60, v96
	v_pack_b32_f16 v54, v54, v79
	v_pack_b32_f16 v42, v42, v80
	;; [unrolled: 1-line block ×3, first 2 shown]
	v_add_f16_e32 v96, v98, v96
	v_fmac_f16_e32 v59, -0.5, v60
	v_add_f16_e32 v60, v107, v62
	v_sub_f16_e32 v62, v67, v62
	v_pack_b32_f16 v67, v72, v74
	v_pack_b32_f16 v72, v75, v86
	;; [unrolled: 1-line block ×3, first 2 shown]
	ds_store_b32 v44, v67
	ds_store_b32 v44, v72 offset:1080
	ds_store_b32 v44, v70 offset:2160
	s_wait_alu 0xf1ff
	v_cndmask_b32_e64 v67, 0, 0xca8, s0
	ds_store_b32 v32, v73
	ds_store_b32 v32, v74 offset:1080
	ds_store_b32 v32, v68 offset:2160
	v_pack_b32_f16 v68, v81, v84
	v_pack_b32_f16 v70, v102, v85
	;; [unrolled: 1-line block ×3, first 2 shown]
	v_add3_u32 v37, 0, v67, v37
	v_pack_b32_f16 v67, v82, v89
	v_pack_b32_f16 v73, v103, v90
	ds_store_b32 v31, v68
	ds_store_b32 v31, v70 offset:1080
	ds_store_b32 v31, v72 offset:2160
	ds_store_b32 v37, v67
	ds_store_b32 v37, v73 offset:1080
	ds_store_b32 v37, v54 offset:2160
	v_add_f16_e32 v37, v55, v57
	v_fmamk_f16 v54, v62, 0xbaee, v59
	v_fmac_f16_e32 v59, 0x3aee, v62
	v_lshrrev_b32_e32 v62, 16, v38
	v_add_f16_e32 v67, v100, v69
	v_add_f16_e32 v68, v38, v55
	v_fmac_f16_e32 v38, -0.5, v37
	v_sub_f16_e32 v37, v100, v69
	v_add_f16_e32 v70, v62, v100
	v_fmac_f16_e32 v62, -0.5, v67
	v_sub_f16_e32 v55, v55, v57
	v_add_f16_e32 v57, v68, v57
	v_fmamk_f16 v67, v37, 0x3aee, v38
	v_fmac_f16_e32 v38, 0xbaee, v37
	v_add_f16_e32 v37, v70, v69
	v_fmamk_f16 v68, v55, 0xbaee, v62
	v_add_f16_e32 v69, v56, v58
	v_fmac_f16_e32 v62, 0x3aee, v55
	v_lshrrev_b32_e32 v55, 16, v43
	v_add_f16_e32 v70, v71, v66
	v_add_f16_e32 v72, v43, v56
	v_fmac_f16_e32 v43, -0.5, v69
	v_sub_f16_e32 v69, v71, v66
	v_add_f16_e32 v71, v55, v71
	v_fmac_f16_e32 v55, -0.5, v70
	v_sub_f16_e32 v56, v56, v58
	v_pack_b32_f16 v33, v95, v65
	v_fmamk_f16 v70, v69, 0x3aee, v43
	v_fmac_f16_e32 v43, 0xbaee, v69
	v_add_f16_e32 v66, v71, v66
	v_fmamk_f16 v69, v56, 0xbaee, v55
	v_fmac_f16_e32 v55, 0x3aee, v56
	v_pack_b32_f16 v56, v64, v91
	v_pack_b32_f16 v64, v105, v94
	;; [unrolled: 1-line block ×5, first 2 shown]
	v_add_f16_e32 v58, v72, v58
	ds_store_2addr_b32 v49, v56, v64 offset0:96 offset1:177
	v_pack_b32_f16 v56, v99, v97
	ds_store_2addr_b32 v47, v71, v56 offset0:110 offset1:191
	ds_store_2addr_b32 v46, v42, v41 offset0:124 offset1:205
	ds_store_b32 v14, v33
	ds_store_b32 v14, v61 offset:1080
	ds_store_b32 v14, v40 offset:2160
	v_lshl_add_u32 v14, v34, 2, 0
	v_pack_b32_f16 v33, v60, v96
	v_pack_b32_f16 v34, v108, v54
	;; [unrolled: 1-line block ×9, first 2 shown]
	ds_store_b32 v14, v33 offset:6480
	ds_store_b32 v14, v34 offset:7560
	;; [unrolled: 1-line block ×9, first 2 shown]
	v_lshlrev_b32_e32 v14, 1, v12
	global_wb scope:SCOPE_SE
	s_wait_dscnt 0x0
	s_barrier_signal -1
	s_barrier_wait -1
	global_inv scope:SCOPE_SE
	s_clause 0x1
	global_load_b64 v[33:34], v[16:17], off offset:3200
	global_load_b64 v[35:36], v[18:19], off offset:3200
	v_lshlrev_b64_e32 v[16:17], 2, v[14:15]
	v_lshlrev_b32_e32 v14, 1, v11
	global_load_b64 v[37:38], v[20:21], off offset:3200
	v_add_co_u32 v16, s0, s4, v16
	s_wait_alu 0xf1ff
	v_add_co_ci_u32_e64 v17, s0, s5, v17, s0
	global_load_b64 v[39:40], v[16:17], off offset:3200
	v_lshlrev_b64_e32 v[16:17], 2, v[14:15]
	v_lshlrev_b32_e32 v14, 1, v10
	s_delay_alu instid0(VALU_DEP_2) | instskip(NEXT) | instid1(VALU_DEP_2)
	v_add_co_u32 v16, s0, s4, v16
	v_lshlrev_b64_e32 v[18:19], 2, v[14:15]
	s_wait_alu 0xf1ff
	s_delay_alu instid0(VALU_DEP_4)
	v_add_co_ci_u32_e64 v17, s0, s5, v17, s0
	v_lshlrev_b32_e32 v14, 1, v9
	global_load_b64 v[41:42], v[16:17], off offset:3200
	v_add_co_u32 v16, s0, s4, v18
	s_wait_alu 0xf1ff
	v_add_co_ci_u32_e64 v17, s0, s5, v19, s0
	global_load_b64 v[54:55], v[16:17], off offset:3200
	v_lshlrev_b64_e32 v[16:17], 2, v[14:15]
	v_lshlrev_b32_e32 v14, 1, v8
	s_delay_alu instid0(VALU_DEP_2) | instskip(NEXT) | instid1(VALU_DEP_2)
	v_add_co_u32 v16, s0, s4, v16
	v_lshlrev_b64_e32 v[18:19], 2, v[14:15]
	s_wait_alu 0xf1ff
	s_delay_alu instid0(VALU_DEP_4)
	v_add_co_ci_u32_e64 v17, s0, s5, v17, s0
	v_lshlrev_b32_e32 v14, 1, v7
	global_load_b64 v[56:57], v[16:17], off offset:3200
	v_add_co_u32 v16, s0, s4, v18
	s_wait_alu 0xf1ff
	v_add_co_ci_u32_e64 v17, s0, s5, v19, s0
	global_load_b64 v[58:59], v[16:17], off offset:3200
	v_lshlrev_b64_e32 v[16:17], 2, v[14:15]
	v_lshlrev_b32_e32 v14, 1, v4
	s_delay_alu instid0(VALU_DEP_2) | instskip(SKIP_1) | instid1(VALU_DEP_3)
	v_add_co_u32 v16, s0, s4, v16
	s_wait_alu 0xf1ff
	v_add_co_ci_u32_e64 v17, s0, s5, v17, s0
	s_delay_alu instid0(VALU_DEP_3)
	v_lshlrev_b64_e32 v[18:19], 2, v[14:15]
	global_load_b64 v[60:61], v[16:17], off offset:3200
	v_add_co_u32 v16, s0, s4, v18
	s_wait_alu 0xf1ff
	v_add_co_ci_u32_e64 v17, s0, s5, v19, s0
	global_load_b64 v[62:63], v[16:17], off offset:3200
	ds_load_2addr_b32 v[64:65], v48 offset0:84 offset1:165
	ds_load_2addr_b32 v[66:67], v53 offset0:76 offset1:157
	;; [unrolled: 1-line block ×6, first 2 shown]
	ds_load_b32 v21, v44
	ds_load_u16 v47, v44 offset:3566
	ds_load_b32 v20, v29
	ds_load_b32 v19, v28
	;; [unrolled: 1-line block ×6, first 2 shown]
	s_wait_dscnt 0xd
	v_lshrrev_b32_e32 v43, 16, v65
	s_wait_dscnt 0xc
	v_lshrrev_b32_e32 v50, 16, v66
	s_wait_dscnt 0xb
	v_lshrrev_b32_e32 v72, 16, v68
	s_wait_dscnt 0xa
	v_lshrrev_b32_e32 v77, 16, v48
	v_lshrrev_b32_e32 v73, 16, v67
	v_lshrrev_b32_e32 v74, 16, v69
	;; [unrolled: 1-line block ×3, first 2 shown]
	s_wait_loadcnt 0x9
	v_lshrrev_b32_e32 v75, 16, v33
	s_wait_loadcnt 0x8
	v_lshrrev_b32_e32 v81, 16, v35
	v_lshrrev_b32_e32 v76, 16, v34
	s_delay_alu instid0(VALU_DEP_3) | instskip(SKIP_1) | instid1(VALU_DEP_3)
	v_mul_f16_e32 v79, v75, v77
	v_mul_f16_e32 v75, v75, v48
	;; [unrolled: 1-line block ×4, first 2 shown]
	s_delay_alu instid0(VALU_DEP_4) | instskip(NEXT) | instid1(VALU_DEP_4)
	v_fma_f16 v48, v33, v48, -v79
	v_fmac_f16_e32 v75, v33, v77
	s_wait_dscnt 0x6
	v_mul_f16_e32 v33, v47, v81
	v_lshrrev_b32_e32 v77, 16, v36
	v_mul_f16_e32 v79, v81, v49
	v_fma_f16 v64, v34, v64, -v80
	v_fmac_f16_e32 v76, v34, v78
	v_fma_f16 v49, v35, v49, -v33
	v_mul_f16_e32 v81, v43, v77
	v_fmac_f16_e32 v79, v47, v35
	v_mul_f16_e32 v47, v65, v77
	s_wait_loadcnt 0x7
	v_lshrrev_b32_e32 v35, 16, v37
	v_lshrrev_b32_e32 v77, 16, v38
	v_fma_f16 v65, v65, v36, -v81
	s_wait_loadcnt 0x6
	v_lshrrev_b32_e32 v81, 16, v39
	v_fmac_f16_e32 v47, v43, v36
	v_mul_f16_e32 v36, v50, v35
	v_mul_f16_e32 v43, v66, v35
	;; [unrolled: 1-line block ×4, first 2 shown]
	v_lshrrev_b32_e32 v80, 16, v52
	v_fma_f16 v66, v66, v37, -v36
	v_fmac_f16_e32 v43, v50, v37
	v_fma_f16 v50, v68, v38, -v35
	v_mul_f16_e32 v35, v73, v81
	v_lshrrev_b32_e32 v36, 16, v40
	v_mul_f16_e32 v68, v67, v81
	ds_load_2addr_b32 v[33:34], v46 offset0:16 offset1:97
	v_lshrrev_b32_e32 v78, 16, v70
	v_fma_f16 v67, v67, v39, -v35
	v_mul_f16_e32 v35, v74, v36
	v_fmac_f16_e32 v68, v73, v39
	v_mul_f16_e32 v39, v69, v36
	s_wait_loadcnt 0x5
	v_lshrrev_b32_e32 v36, 16, v41
	ds_load_2addr_b32 v[45:46], v45 offset0:58 offset1:139
	v_fma_f16 v69, v69, v40, -v35
	v_lshrrev_b32_e32 v35, 16, v42
	v_fmac_f16_e32 v77, v72, v38
	v_lshrrev_b32_e32 v72, 16, v71
	v_lshrrev_b32_e32 v81, 16, v53
	v_fmac_f16_e32 v39, v74, v40
	v_mul_f16_e32 v40, v70, v36
	v_mul_f16_e32 v82, v52, v35
	s_wait_loadcnt 0x4
	v_lshrrev_b32_e32 v37, 16, v54
	v_mul_f16_e32 v35, v80, v35
	v_lshrrev_b32_e32 v38, 16, v55
	v_mul_f16_e32 v36, v78, v36
	v_fmac_f16_e32 v40, v78, v41
	v_fmac_f16_e32 v82, v80, v42
	v_mul_f16_e32 v78, v72, v37
	v_fma_f16 v42, v52, v42, -v35
	v_mul_f16_e32 v52, v81, v38
	v_fma_f16 v41, v70, v41, -v36
	ds_load_2addr_b32 v[35:36], v51 offset0:50 offset1:131
	v_fma_f16 v78, v71, v54, -v78
	v_mul_f16_e32 v71, v71, v37
	v_fma_f16 v51, v53, v55, -v52
	v_mul_f16_e32 v52, v53, v38
	s_wait_loadcnt 0x3
	v_lshrrev_b32_e32 v53, 16, v56
	s_wait_dscnt 0x2
	v_lshrrev_b32_e32 v73, 16, v33
	ds_load_2addr_b32 v[37:38], v6 offset0:92 offset1:173
	v_lshrrev_b32_e32 v6, 16, v57
	v_fmac_f16_e32 v71, v72, v54
	v_mul_f16_e32 v54, v33, v53
	s_wait_dscnt 0x2
	v_lshrrev_b32_e32 v74, 16, v45
	v_lshrrev_b32_e32 v70, 16, v34
	v_fmac_f16_e32 v52, v81, v55
	v_lshrrev_b32_e32 v55, 16, v46
	v_mul_f16_e32 v72, v45, v6
	v_mul_f16_e32 v53, v73, v53
	s_wait_loadcnt 0x2
	v_lshrrev_b32_e32 v80, 16, v58
	v_fmac_f16_e32 v54, v73, v56
	v_lshrrev_b32_e32 v73, 16, v59
	v_mul_f16_e32 v6, v74, v6
	v_fmac_f16_e32 v72, v74, v57
	v_mul_f16_e32 v74, v70, v80
	v_fma_f16 v33, v33, v56, -v53
	v_mul_f16_e32 v53, v55, v73
	v_fma_f16 v6, v45, v57, -v6
	s_wait_dscnt 0x1
	v_lshrrev_b32_e32 v45, 16, v35
	v_fma_f16 v56, v34, v58, -v74
	v_mul_f16_e32 v34, v34, v80
	v_fma_f16 v53, v46, v59, -v53
	v_mul_f16_e32 v46, v46, v73
	s_wait_loadcnt 0x1
	v_lshrrev_b32_e32 v73, 16, v60
	s_wait_dscnt 0x0
	v_lshrrev_b32_e32 v57, 16, v37
	v_fmac_f16_e32 v34, v70, v58
	v_lshrrev_b32_e32 v58, 16, v61
	v_fmac_f16_e32 v46, v55, v59
	v_mul_f16_e32 v55, v35, v73
	v_lshrrev_b32_e32 v74, 16, v36
	v_lshrrev_b32_e32 v80, 16, v38
	v_mul_f16_e32 v59, v45, v73
	s_wait_loadcnt 0x0
	v_lshrrev_b32_e32 v73, 16, v62
	v_mul_f16_e32 v83, v57, v58
	v_mul_f16_e32 v58, v37, v58
	v_fmac_f16_e32 v55, v45, v60
	v_lshrrev_b32_e32 v45, 16, v63
	ds_load_b32 v70, v31
	ds_load_b32 v81, v32
	v_mul_f16_e32 v84, v74, v73
	v_fmac_f16_e32 v58, v57, v61
	v_fma_f16 v35, v35, v60, -v59
	v_mul_f16_e32 v57, v80, v45
	v_lshrrev_b32_e32 v60, 16, v21
	v_fma_f16 v59, v36, v62, -v84
	v_mul_f16_e32 v36, v36, v73
	v_fma_f16 v37, v37, v61, -v83
	v_fma_f16 v57, v38, v63, -v57
	v_mul_f16_e32 v38, v38, v45
	v_add_f16_e32 v83, v19, v41
	v_fmac_f16_e32 v36, v74, v62
	v_add_f16_e32 v62, v48, v64
	v_lshrrev_b32_e32 v74, 16, v20
	v_fmac_f16_e32 v38, v80, v63
	v_add_f16_e32 v80, v75, v76
	v_add_f16_e32 v63, v21, v48
	v_fmac_f16_e32 v21, -0.5, v62
	v_sub_f16_e32 v62, v75, v76
	v_add_f16_e32 v75, v60, v75
	v_fmac_f16_e32 v60, -0.5, v80
	v_sub_f16_e32 v48, v48, v64
	s_wait_dscnt 0x0
	v_lshrrev_b32_e32 v45, 16, v81
	v_add_f16_e32 v63, v63, v64
	v_fmamk_f16 v64, v62, 0x3aee, v21
	v_fmac_f16_e32 v21, 0xbaee, v62
	v_add_f16_e32 v62, v75, v76
	v_add_f16_e32 v75, v49, v65
	v_fmamk_f16 v76, v48, 0xbaee, v60
	v_fmac_f16_e32 v60, 0x3aee, v48
	v_add_f16_e32 v48, v79, v47
	v_add_f16_e32 v80, v81, v49
	v_fmac_f16_e32 v81, -0.5, v75
	v_sub_f16_e32 v75, v79, v47
	v_add_f16_e32 v79, v45, v79
	v_fmac_f16_e32 v45, -0.5, v48
	v_sub_f16_e32 v48, v49, v65
	v_lshrrev_b32_e32 v73, 16, v70
	v_add_f16_e32 v80, v80, v65
	v_fmamk_f16 v49, v75, 0x3aee, v81
	v_fmac_f16_e32 v81, 0xbaee, v75
	v_add_f16_e32 v65, v66, v50
	v_fmamk_f16 v75, v48, 0xbaee, v45
	v_fmac_f16_e32 v45, 0x3aee, v48
	v_add_f16_e32 v48, v43, v77
	v_add_f16_e32 v47, v79, v47
	;; [unrolled: 1-line block ×3, first 2 shown]
	v_fmac_f16_e32 v70, -0.5, v65
	v_sub_f16_e32 v65, v43, v77
	v_add_f16_e32 v43, v73, v43
	v_fmac_f16_e32 v73, -0.5, v48
	v_sub_f16_e32 v48, v66, v50
	v_add_f16_e32 v79, v79, v50
	v_fmamk_f16 v50, v65, 0x3aee, v70
	v_fmac_f16_e32 v70, 0xbaee, v65
	v_add_f16_e32 v65, v67, v69
	v_fmamk_f16 v66, v48, 0xbaee, v73
	v_fmac_f16_e32 v73, 0x3aee, v48
	v_add_f16_e32 v48, v68, v39
	v_add_f16_e32 v43, v43, v77
	;; [unrolled: 1-line block ×3, first 2 shown]
	v_fmac_f16_e32 v20, -0.5, v65
	v_sub_f16_e32 v65, v68, v39
	v_add_f16_e32 v68, v74, v68
	v_fmac_f16_e32 v74, -0.5, v48
	v_sub_f16_e32 v67, v67, v69
	v_lshrrev_b32_e32 v48, 16, v19
	v_add_f16_e32 v77, v77, v69
	v_fmamk_f16 v69, v65, 0x3aee, v20
	v_fmac_f16_e32 v20, 0xbaee, v65
	v_add_f16_e32 v65, v41, v42
	v_add_f16_e32 v39, v68, v39
	v_fmamk_f16 v68, v67, 0xbaee, v74
	v_fmac_f16_e32 v74, 0x3aee, v67
	v_add_f16_e32 v67, v40, v82
	v_fmac_f16_e32 v19, -0.5, v65
	v_sub_f16_e32 v65, v40, v82
	v_add_f16_e32 v40, v48, v40
	v_sub_f16_e32 v41, v41, v42
	v_fmac_f16_e32 v48, -0.5, v67
	v_add_f16_e32 v67, v83, v42
	v_fmamk_f16 v42, v65, 0x3aee, v19
	v_fmac_f16_e32 v19, 0xbaee, v65
	v_add_f16_e32 v40, v40, v82
	v_add_f16_e32 v65, v78, v51
	v_fmamk_f16 v82, v41, 0xbaee, v48
	v_fmac_f16_e32 v48, 0x3aee, v41
	v_lshrrev_b32_e32 v41, 16, v18
	v_add_f16_e32 v83, v71, v52
	v_add_f16_e32 v84, v18, v78
	v_fmac_f16_e32 v18, -0.5, v65
	v_sub_f16_e32 v65, v71, v52
	v_add_f16_e32 v71, v41, v71
	v_fmac_f16_e32 v41, -0.5, v83
	v_sub_f16_e32 v78, v78, v51
	v_add_f16_e32 v51, v84, v51
	v_fmamk_f16 v83, v65, 0x3aee, v18
	v_fmac_f16_e32 v18, 0xbaee, v65
	v_add_f16_e32 v52, v71, v52
	v_fmamk_f16 v65, v78, 0xbaee, v41
	v_add_f16_e32 v71, v33, v6
	v_fmac_f16_e32 v41, 0x3aee, v78
	v_lshrrev_b32_e32 v78, 16, v17
	v_add_f16_e32 v84, v54, v72
	v_add_f16_e32 v85, v17, v33
	v_fmac_f16_e32 v17, -0.5, v71
	v_sub_f16_e32 v71, v54, v72
	v_add_f16_e32 v54, v78, v54
	v_fmac_f16_e32 v78, -0.5, v84
	v_sub_f16_e32 v33, v33, v6
	ds_load_b32 v61, v30
	v_add_f16_e32 v6, v85, v6
	v_fmamk_f16 v84, v71, 0x3aee, v17
	v_fmac_f16_e32 v17, 0xbaee, v71
	v_add_f16_e32 v54, v54, v72
	v_fmamk_f16 v71, v33, 0xbaee, v78
	v_add_f16_e32 v72, v56, v53
	v_fmac_f16_e32 v78, 0x3aee, v33
	v_lshrrev_b32_e32 v33, 16, v16
	v_add_f16_e32 v85, v34, v46
	v_add_f16_e32 v86, v16, v56
	v_fmac_f16_e32 v16, -0.5, v72
	v_sub_f16_e32 v72, v34, v46
	v_add_f16_e32 v34, v33, v34
	v_fmac_f16_e32 v33, -0.5, v85
	v_sub_f16_e32 v56, v56, v53
	v_add_f16_e32 v53, v86, v53
	v_fmamk_f16 v85, v72, 0x3aee, v16
	v_fmac_f16_e32 v16, 0xbaee, v72
	v_add_f16_e32 v34, v34, v46
	v_fmamk_f16 v46, v56, 0xbaee, v33
	v_add_f16_e32 v72, v35, v37
	v_fmac_f16_e32 v33, 0x3aee, v56
	v_lshrrev_b32_e32 v56, 16, v14
	v_add_f16_e32 v86, v55, v58
	v_add_f16_e32 v87, v14, v35
	v_fmac_f16_e32 v14, -0.5, v72
	v_sub_f16_e32 v72, v55, v58
	v_add_f16_e32 v55, v56, v55
	v_fmac_f16_e32 v56, -0.5, v86
	v_sub_f16_e32 v35, v35, v37
	v_add_f16_e32 v37, v87, v37
	v_fmamk_f16 v86, v72, 0x3aee, v14
	v_fmac_f16_e32 v14, 0xbaee, v72
	v_add_f16_e32 v55, v55, v58
	v_fmamk_f16 v58, v35, 0xbaee, v56
	v_add_f16_e32 v72, v59, v57
	v_fmac_f16_e32 v56, 0x3aee, v35
	s_wait_dscnt 0x0
	v_lshrrev_b32_e32 v35, 16, v61
	v_add_f16_e32 v87, v36, v38
	v_add_f16_e32 v88, v61, v59
	v_fmac_f16_e32 v61, -0.5, v72
	v_sub_f16_e32 v72, v36, v38
	v_add_f16_e32 v36, v35, v36
	v_fmac_f16_e32 v35, -0.5, v87
	v_sub_f16_e32 v59, v59, v57
	v_pack_b32_f16 v21, v21, v60
	v_pack_b32_f16 v47, v80, v47
	v_add_f16_e32 v36, v36, v38
	v_pack_b32_f16 v49, v49, v75
	v_fmamk_f16 v38, v59, 0xbaee, v35
	v_fmac_f16_e32 v35, 0x3aee, v59
	v_pack_b32_f16 v59, v63, v62
	v_pack_b32_f16 v62, v64, v76
	global_wb scope:SCOPE_SE
	s_barrier_signal -1
	s_barrier_wait -1
	global_inv scope:SCOPE_SE
	v_pack_b32_f16 v45, v81, v45
	ds_store_b32 v44, v59
	ds_store_b32 v44, v62 offset:3240
	ds_store_b32 v44, v21 offset:6480
	ds_store_b32 v32, v47
	ds_store_b32 v32, v49 offset:3240
	ds_store_b32 v32, v45 offset:6480
	v_pack_b32_f16 v21, v79, v43
	v_pack_b32_f16 v32, v50, v66
	;; [unrolled: 1-line block ×6, first 2 shown]
	ds_store_b32 v31, v21
	ds_store_b32 v31, v32 offset:3240
	ds_store_b32 v31, v43 offset:6480
	ds_store_b32 v29, v39
	ds_store_b32 v29, v45 offset:3240
	ds_store_b32 v29, v20 offset:6480
	v_pack_b32_f16 v20, v67, v40
	v_pack_b32_f16 v21, v42, v82
	v_pack_b32_f16 v19, v19, v48
	v_pack_b32_f16 v31, v51, v52
	v_pack_b32_f16 v32, v83, v65
	v_pack_b32_f16 v18, v18, v41
	v_pack_b32_f16 v6, v6, v54
	ds_store_b32 v28, v20
	ds_store_b32 v28, v21 offset:3240
	ds_store_b32 v28, v19 offset:6480
	ds_store_b32 v27, v31
	ds_store_b32 v27, v32 offset:3240
	ds_store_b32 v27, v18 offset:6480
	v_pack_b32_f16 v18, v84, v71
	v_pack_b32_f16 v17, v17, v78
	v_add_f16_e32 v57, v88, v57
	v_pack_b32_f16 v19, v53, v34
	v_fmamk_f16 v87, v72, 0x3aee, v61
	v_pack_b32_f16 v20, v85, v46
	v_fmac_f16_e32 v61, 0xbaee, v72
	v_pack_b32_f16 v16, v16, v33
	ds_store_b32 v26, v6
	ds_store_b32 v26, v18 offset:3240
	ds_store_b32 v26, v17 offset:6480
	ds_store_b32 v25, v19
	ds_store_b32 v25, v20 offset:3240
	ds_store_b32 v25, v16 offset:6480
	v_pack_b32_f16 v6, v37, v55
	v_pack_b32_f16 v16, v86, v58
	;; [unrolled: 1-line block ×6, first 2 shown]
	ds_store_b32 v24, v6
	ds_store_b32 v24, v16 offset:3240
	ds_store_b32 v24, v14 offset:6480
	ds_store_b32 v30, v17
	ds_store_b32 v30, v18 offset:3240
	ds_store_b32 v30, v19 offset:6480
	global_wb scope:SCOPE_SE
	s_wait_dscnt 0x0
	s_barrier_signal -1
	s_barrier_wait -1
	global_inv scope:SCOPE_SE
	ds_load_b32 v6, v44
	v_sub_nc_u32_e32 v18, 0, v1
                                        ; implicit-def: $vgpr21
                                        ; implicit-def: $vgpr20
                                        ; implicit-def: $vgpr19
                                        ; implicit-def: $vgpr16_vgpr17
	s_wait_dscnt 0x0
	v_lshrrev_b32_e32 v14, 16, v6
	v_cmpx_ne_u32_e32 0, v0
	s_wait_alu 0xfffe
	s_xor_b32 s1, exec_lo, s1
	s_cbranch_execz .LBB0_15
; %bb.14:
	v_mov_b32_e32 v1, v15
	s_delay_alu instid0(VALU_DEP_1) | instskip(NEXT) | instid1(VALU_DEP_1)
	v_lshlrev_b64_e32 v[15:16], 2, v[0:1]
	v_add_co_u32 v15, s0, s4, v15
	s_wait_alu 0xf1ff
	s_delay_alu instid0(VALU_DEP_2)
	v_add_co_ci_u32_e64 v16, s0, s5, v16, s0
	global_load_b32 v15, v[15:16], off offset:9680
	ds_load_b32 v16, v18 offset:9720
	s_wait_dscnt 0x0
	v_lshrrev_b32_e32 v17, 16, v16
	v_sub_f16_e32 v19, v6, v16
	v_add_f16_e32 v6, v16, v6
	s_delay_alu instid0(VALU_DEP_3) | instskip(SKIP_1) | instid1(VALU_DEP_4)
	v_add_f16_e32 v20, v17, v14
	v_sub_f16_e32 v14, v14, v17
	v_mul_f16_e32 v17, 0.5, v19
	s_delay_alu instid0(VALU_DEP_3) | instskip(NEXT) | instid1(VALU_DEP_3)
	v_mul_f16_e32 v16, 0.5, v20
	v_mul_f16_e32 v14, 0.5, v14
	s_wait_loadcnt 0x0
	v_lshrrev_b32_e32 v19, 16, v15
	s_delay_alu instid0(VALU_DEP_1) | instskip(NEXT) | instid1(VALU_DEP_3)
	v_mul_f16_e32 v20, v19, v17
	v_fma_f16 v21, v16, v19, v14
	v_fma_f16 v14, v16, v19, -v14
	s_delay_alu instid0(VALU_DEP_3) | instskip(SKIP_1) | instid1(VALU_DEP_4)
	v_fma_f16 v31, 0.5, v6, v20
	v_fma_f16 v6, v6, 0.5, -v20
	v_fma_f16 v19, -v15, v17, v21
	s_delay_alu instid0(VALU_DEP_4) | instskip(NEXT) | instid1(VALU_DEP_4)
	v_fma_f16 v21, -v15, v17, v14
                                        ; implicit-def: $vgpr14
	v_fmac_f16_e32 v31, v15, v16
	s_delay_alu instid0(VALU_DEP_4)
	v_fma_f16 v20, -v15, v16, v6
	v_dual_mov_b32 v17, v1 :: v_dual_mov_b32 v16, v0
                                        ; implicit-def: $vgpr6
	ds_store_b16 v44, v31
.LBB0_15:
	s_wait_alu 0xfffe
	s_or_saveexec_b32 s0, s1
	v_mul_i32_i24_e32 v15, 0xffffffdc, v5
	v_mul_i32_i24_e32 v1, 0xffffffdc, v13
	s_wait_alu 0xfffe
	s_xor_b32 exec_lo, exec_lo, s0
	s_cbranch_execz .LBB0_17
; %bb.16:
	v_mov_b32_e32 v19, 0
	v_add_f16_e32 v31, v14, v6
	v_sub_f16_e32 v20, v6, v14
	v_mov_b32_e32 v21, 0
	ds_load_u16 v16, v19 offset:4862
	s_wait_dscnt 0x0
	v_xor_b32_e32 v6, 0x8000, v16
	v_mov_b32_e32 v16, 0
	v_mov_b32_e32 v17, 0
	ds_store_b16 v44, v31
	ds_store_b16 v19, v6 offset:4862
.LBB0_17:
	s_or_b32 exec_lo, exec_lo, s0
	v_dual_mov_b32 v6, 0 :: v_dual_add_nc_u32 v15, v23, v15
	v_perm_b32 v20, v21, v20, 0x5040100
	ds_store_b16 v44, v19 offset:2
	ds_load_b32 v19, v18 offset:9396
	v_lshlrev_b64_e32 v[31:32], 2, v[5:6]
	v_mov_b32_e32 v14, v6
	ds_store_b32 v18, v20 offset:9720
	ds_load_b32 v20, v15
	v_add_nc_u32_e32 v1, v22, v1
	v_lshlrev_b64_e32 v[13:14], 2, v[13:14]
	v_add_co_u32 v31, s0, s4, v31
	s_wait_alu 0xf1ff
	v_add_co_ci_u32_e64 v32, s0, s5, v32, s0
	s_delay_alu instid0(VALU_DEP_3)
	v_add_co_u32 v13, s0, s4, v13
	global_load_b32 v5, v[31:32], off offset:9680
	s_wait_alu 0xf1ff
	v_add_co_ci_u32_e64 v14, s0, s5, v14, s0
	global_load_b32 v14, v[13:14], off offset:9680
	v_mov_b32_e32 v13, v6
	s_delay_alu instid0(VALU_DEP_1) | instskip(NEXT) | instid1(VALU_DEP_1)
	v_lshlrev_b64_e32 v[12:13], 2, v[12:13]
	v_add_co_u32 v12, s0, s4, v12
	s_wait_alu 0xf1ff
	s_delay_alu instid0(VALU_DEP_2) | instskip(SKIP_2) | instid1(VALU_DEP_1)
	v_add_co_ci_u32_e64 v13, s0, s5, v13, s0
	global_load_b32 v13, v[12:13], off offset:9680
	v_mov_b32_e32 v12, v6
	v_lshlrev_b64_e32 v[11:12], 2, v[11:12]
	s_delay_alu instid0(VALU_DEP_1) | instskip(SKIP_1) | instid1(VALU_DEP_2)
	v_add_co_u32 v11, s0, s4, v11
	s_wait_alu 0xf1ff
	v_add_co_ci_u32_e64 v12, s0, s5, v12, s0
	global_load_b32 v12, v[11:12], off offset:9680
	v_mov_b32_e32 v11, v6
	s_delay_alu instid0(VALU_DEP_1) | instskip(NEXT) | instid1(VALU_DEP_1)
	v_lshlrev_b64_e32 v[10:11], 2, v[10:11]
	v_add_co_u32 v10, s0, s4, v10
	s_wait_alu 0xf1ff
	s_delay_alu instid0(VALU_DEP_2) | instskip(SKIP_2) | instid1(VALU_DEP_1)
	v_add_co_ci_u32_e64 v11, s0, s5, v11, s0
	global_load_b32 v11, v[10:11], off offset:9680
	v_mov_b32_e32 v10, v6
	v_lshlrev_b64_e32 v[9:10], 2, v[9:10]
	s_delay_alu instid0(VALU_DEP_1) | instskip(SKIP_1) | instid1(VALU_DEP_2)
	v_add_co_u32 v9, s0, s4, v9
	s_wait_alu 0xf1ff
	v_add_co_ci_u32_e64 v10, s0, s5, v10, s0
	global_load_b32 v10, v[9:10], off offset:9680
	s_wait_dscnt 0x0
	v_pk_add_f16 v9, v20, v19 neg_lo:[0,1] neg_hi:[0,1]
	v_pk_add_f16 v19, v20, v19
	s_delay_alu instid0(VALU_DEP_1) | instskip(SKIP_1) | instid1(VALU_DEP_2)
	v_bfi_b32 v20, 0xffff, v9, v19
	v_bfi_b32 v9, 0xffff, v19, v9
	v_pk_mul_f16 v19, v20, 0.5 op_sel_hi:[1,0]
	s_delay_alu instid0(VALU_DEP_2) | instskip(SKIP_1) | instid1(VALU_DEP_1)
	v_pk_mul_f16 v9, v9, 0.5 op_sel_hi:[1,0]
	s_wait_loadcnt 0x5
	v_pk_fma_f16 v20, v5, v19, v9 op_sel:[1,0,0]
	v_pk_mul_f16 v21, v5, v19 op_sel_hi:[0,1]
	v_pk_fma_f16 v23, v5, v19, v9 op_sel:[1,0,0] neg_lo:[1,0,0] neg_hi:[1,0,0]
	v_pk_fma_f16 v5, v5, v19, v9 op_sel:[1,0,0] neg_lo:[0,0,1] neg_hi:[0,0,1]
	v_mov_b32_e32 v9, v6
	s_delay_alu instid0(VALU_DEP_4) | instskip(SKIP_4) | instid1(VALU_DEP_4)
	v_pk_add_f16 v19, v20, v21 op_sel:[0,1] op_sel_hi:[1,0]
	v_pk_add_f16 v20, v20, v21 op_sel:[0,1] op_sel_hi:[1,0] neg_lo:[0,1] neg_hi:[0,1]
	v_pk_add_f16 v23, v23, v21 op_sel:[0,1] op_sel_hi:[1,0] neg_lo:[0,1] neg_hi:[0,1]
	;; [unrolled: 1-line block ×3, first 2 shown]
	v_lshlrev_b64_e32 v[8:9], 2, v[8:9]
	v_bfi_b32 v19, 0xffff, v19, v20
	s_delay_alu instid0(VALU_DEP_3)
	v_bfi_b32 v5, 0xffff, v23, v5
	ds_store_b32 v15, v19
	ds_store_b32 v18, v5 offset:9396
	ds_load_b32 v5, v1
	ds_load_b32 v15, v18 offset:9072
	v_add_co_u32 v8, s0, s4, v8
	s_wait_alu 0xf1ff
	v_add_co_ci_u32_e64 v9, s0, s5, v9, s0
	global_load_b32 v19, v[8:9], off offset:9680
	s_wait_dscnt 0x0
	v_pk_add_f16 v8, v5, v15 neg_lo:[0,1] neg_hi:[0,1]
	v_pk_add_f16 v5, v5, v15
	s_delay_alu instid0(VALU_DEP_1) | instskip(SKIP_1) | instid1(VALU_DEP_2)
	v_bfi_b32 v9, 0xffff, v8, v5
	v_bfi_b32 v5, 0xffff, v5, v8
	v_pk_mul_f16 v8, v9, 0.5 op_sel_hi:[1,0]
	s_delay_alu instid0(VALU_DEP_2) | instskip(SKIP_1) | instid1(VALU_DEP_2)
	v_pk_mul_f16 v5, v5, 0.5 op_sel_hi:[1,0]
	s_wait_loadcnt 0x5
	v_pk_mul_f16 v15, v14, v8 op_sel_hi:[0,1]
	s_delay_alu instid0(VALU_DEP_2) | instskip(SKIP_3) | instid1(VALU_DEP_4)
	v_pk_fma_f16 v9, v14, v8, v5 op_sel:[1,0,0]
	v_pk_fma_f16 v20, v14, v8, v5 op_sel:[1,0,0] neg_lo:[1,0,0] neg_hi:[1,0,0]
	v_pk_fma_f16 v5, v14, v8, v5 op_sel:[1,0,0] neg_lo:[0,0,1] neg_hi:[0,0,1]
	v_mov_b32_e32 v8, v6
	v_pk_add_f16 v14, v9, v15 op_sel:[0,1] op_sel_hi:[1,0]
	v_pk_add_f16 v9, v9, v15 op_sel:[0,1] op_sel_hi:[1,0] neg_lo:[0,1] neg_hi:[0,1]
	v_pk_add_f16 v20, v20, v15 op_sel:[0,1] op_sel_hi:[1,0] neg_lo:[0,1] neg_hi:[0,1]
	;; [unrolled: 1-line block ×3, first 2 shown]
	s_delay_alu instid0(VALU_DEP_3) | instskip(NEXT) | instid1(VALU_DEP_2)
	v_bfi_b32 v9, 0xffff, v14, v9
	v_bfi_b32 v5, 0xffff, v20, v5
	ds_store_b32 v1, v9
	ds_store_b32 v18, v5 offset:9072
	v_mov_b32_e32 v5, v6
	v_lshlrev_b64_e32 v[7:8], 2, v[7:8]
	ds_load_b32 v1, v29
	ds_load_b32 v9, v18 offset:8748
	v_lshlrev_b64_e32 v[4:5], 2, v[4:5]
	v_add_co_u32 v7, s0, s4, v7
	s_wait_alu 0xf1ff
	v_add_co_ci_u32_e64 v8, s0, s5, v8, s0
	s_add_nc_u64 s[0:1], s[4:5], 0x25d0
	global_load_b32 v14, v[7:8], off offset:9680
	v_lshlrev_b64_e32 v[6:7], 2, v[16:17]
	s_wait_alu 0xfffe
	s_delay_alu instid0(VALU_DEP_1)
	v_add_co_u32 v8, s0, s0, v6
	s_wait_dscnt 0x0
	v_pk_add_f16 v15, v1, v9 neg_lo:[0,1] neg_hi:[0,1]
	v_pk_add_f16 v1, v1, v9
	s_wait_alu 0xf1ff
	v_add_co_ci_u32_e64 v9, s0, s1, v7, s0
	v_add_co_u32 v4, s0, s4, v4
	s_delay_alu instid0(VALU_DEP_3)
	v_bfi_b32 v16, 0xffff, v15, v1
	v_bfi_b32 v1, 0xffff, v1, v15
	s_wait_alu 0xf1ff
	v_add_co_ci_u32_e64 v5, s0, s5, v5, s0
	s_clause 0x1
	global_load_b32 v4, v[4:5], off offset:9680
	global_load_b32 v5, v[8:9], off offset:3240
	v_pk_mul_f16 v15, v16, 0.5 op_sel_hi:[1,0]
	v_pk_mul_f16 v1, v1, 0.5 op_sel_hi:[1,0]
	s_wait_loadcnt 0x7
	s_delay_alu instid0(VALU_DEP_2) | instskip(NEXT) | instid1(VALU_DEP_2)
	v_pk_mul_f16 v17, v13, v15 op_sel_hi:[0,1]
	v_pk_fma_f16 v16, v13, v15, v1 op_sel:[1,0,0]
	v_pk_fma_f16 v20, v13, v15, v1 op_sel:[1,0,0] neg_lo:[1,0,0] neg_hi:[1,0,0]
	v_pk_fma_f16 v1, v13, v15, v1 op_sel:[1,0,0] neg_lo:[0,0,1] neg_hi:[0,0,1]
	s_delay_alu instid0(VALU_DEP_3) | instskip(SKIP_1) | instid1(VALU_DEP_4)
	v_pk_add_f16 v13, v16, v17 op_sel:[0,1] op_sel_hi:[1,0]
	v_pk_add_f16 v15, v16, v17 op_sel:[0,1] op_sel_hi:[1,0] neg_lo:[0,1] neg_hi:[0,1]
	v_pk_add_f16 v16, v20, v17 op_sel:[0,1] op_sel_hi:[1,0] neg_lo:[0,1] neg_hi:[0,1]
	s_delay_alu instid0(VALU_DEP_4) | instskip(NEXT) | instid1(VALU_DEP_3)
	v_pk_add_f16 v1, v1, v17 op_sel:[0,1] op_sel_hi:[1,0] neg_lo:[0,1] neg_hi:[0,1]
	v_bfi_b32 v13, 0xffff, v13, v15
	s_delay_alu instid0(VALU_DEP_2)
	v_bfi_b32 v1, 0xffff, v16, v1
	ds_store_b32 v29, v13
	ds_store_b32 v18, v1 offset:8748
	ds_load_b32 v1, v28
	ds_load_b32 v13, v18 offset:8424
	s_wait_dscnt 0x0
	v_pk_add_f16 v15, v1, v13 neg_lo:[0,1] neg_hi:[0,1]
	v_pk_add_f16 v1, v1, v13
	s_delay_alu instid0(VALU_DEP_1) | instskip(SKIP_1) | instid1(VALU_DEP_2)
	v_bfi_b32 v13, 0xffff, v15, v1
	v_bfi_b32 v1, 0xffff, v1, v15
	v_pk_mul_f16 v13, v13, 0.5 op_sel_hi:[1,0]
	s_delay_alu instid0(VALU_DEP_2) | instskip(SKIP_1) | instid1(VALU_DEP_2)
	v_pk_mul_f16 v1, v1, 0.5 op_sel_hi:[1,0]
	s_wait_loadcnt 0x6
	v_pk_mul_f16 v16, v12, v13 op_sel_hi:[0,1]
	s_delay_alu instid0(VALU_DEP_2) | instskip(SKIP_2) | instid1(VALU_DEP_3)
	v_pk_fma_f16 v15, v12, v13, v1 op_sel:[1,0,0]
	v_pk_fma_f16 v17, v12, v13, v1 op_sel:[1,0,0] neg_lo:[1,0,0] neg_hi:[1,0,0]
	v_pk_fma_f16 v1, v12, v13, v1 op_sel:[1,0,0] neg_lo:[0,0,1] neg_hi:[0,0,1]
	v_pk_add_f16 v12, v15, v16 op_sel:[0,1] op_sel_hi:[1,0]
	v_pk_add_f16 v13, v15, v16 op_sel:[0,1] op_sel_hi:[1,0] neg_lo:[0,1] neg_hi:[0,1]
	s_delay_alu instid0(VALU_DEP_4) | instskip(NEXT) | instid1(VALU_DEP_4)
	v_pk_add_f16 v15, v17, v16 op_sel:[0,1] op_sel_hi:[1,0] neg_lo:[0,1] neg_hi:[0,1]
	v_pk_add_f16 v1, v1, v16 op_sel:[0,1] op_sel_hi:[1,0] neg_lo:[0,1] neg_hi:[0,1]
	s_delay_alu instid0(VALU_DEP_3) | instskip(NEXT) | instid1(VALU_DEP_2)
	v_bfi_b32 v12, 0xffff, v12, v13
	v_bfi_b32 v1, 0xffff, v15, v1
	ds_store_b32 v28, v12
	ds_store_b32 v18, v1 offset:8424
	ds_load_b32 v1, v27
	ds_load_b32 v12, v18 offset:8100
	s_wait_dscnt 0x0
	v_pk_add_f16 v13, v1, v12 neg_lo:[0,1] neg_hi:[0,1]
	v_pk_add_f16 v1, v1, v12
	s_delay_alu instid0(VALU_DEP_1) | instskip(SKIP_1) | instid1(VALU_DEP_2)
	v_bfi_b32 v12, 0xffff, v13, v1
	v_bfi_b32 v1, 0xffff, v1, v13
	v_pk_mul_f16 v12, v12, 0.5 op_sel_hi:[1,0]
	s_delay_alu instid0(VALU_DEP_2) | instskip(SKIP_1) | instid1(VALU_DEP_2)
	v_pk_mul_f16 v1, v1, 0.5 op_sel_hi:[1,0]
	s_wait_loadcnt 0x5
	v_pk_mul_f16 v15, v11, v12 op_sel_hi:[0,1]
	s_delay_alu instid0(VALU_DEP_2) | instskip(SKIP_2) | instid1(VALU_DEP_3)
	v_pk_fma_f16 v13, v11, v12, v1 op_sel:[1,0,0]
	v_pk_fma_f16 v16, v11, v12, v1 op_sel:[1,0,0] neg_lo:[1,0,0] neg_hi:[1,0,0]
	v_pk_fma_f16 v1, v11, v12, v1 op_sel:[1,0,0] neg_lo:[0,0,1] neg_hi:[0,0,1]
	v_pk_add_f16 v11, v13, v15 op_sel:[0,1] op_sel_hi:[1,0]
	v_pk_add_f16 v12, v13, v15 op_sel:[0,1] op_sel_hi:[1,0] neg_lo:[0,1] neg_hi:[0,1]
	s_delay_alu instid0(VALU_DEP_4) | instskip(NEXT) | instid1(VALU_DEP_4)
	v_pk_add_f16 v13, v16, v15 op_sel:[0,1] op_sel_hi:[1,0] neg_lo:[0,1] neg_hi:[0,1]
	v_pk_add_f16 v1, v1, v15 op_sel:[0,1] op_sel_hi:[1,0] neg_lo:[0,1] neg_hi:[0,1]
	s_delay_alu instid0(VALU_DEP_3) | instskip(NEXT) | instid1(VALU_DEP_2)
	v_bfi_b32 v11, 0xffff, v11, v12
	v_bfi_b32 v1, 0xffff, v13, v1
	ds_store_b32 v27, v11
	ds_store_b32 v18, v1 offset:8100
	ds_load_b32 v1, v26
	ds_load_b32 v11, v18 offset:7776
	global_load_b32 v12, v[8:9], off offset:3564
	s_wait_dscnt 0x0
	v_pk_add_f16 v13, v1, v11 neg_lo:[0,1] neg_hi:[0,1]
	v_pk_add_f16 v1, v1, v11
	s_delay_alu instid0(VALU_DEP_1) | instskip(SKIP_1) | instid1(VALU_DEP_2)
	v_bfi_b32 v11, 0xffff, v13, v1
	v_bfi_b32 v1, 0xffff, v1, v13
	v_pk_mul_f16 v11, v11, 0.5 op_sel_hi:[1,0]
	s_delay_alu instid0(VALU_DEP_2) | instskip(SKIP_1) | instid1(VALU_DEP_2)
	v_pk_mul_f16 v1, v1, 0.5 op_sel_hi:[1,0]
	s_wait_loadcnt 0x5
	v_pk_mul_f16 v15, v10, v11 op_sel_hi:[0,1]
	s_delay_alu instid0(VALU_DEP_2) | instskip(SKIP_2) | instid1(VALU_DEP_3)
	v_pk_fma_f16 v13, v10, v11, v1 op_sel:[1,0,0]
	v_pk_fma_f16 v16, v10, v11, v1 op_sel:[1,0,0] neg_lo:[1,0,0] neg_hi:[1,0,0]
	v_pk_fma_f16 v1, v10, v11, v1 op_sel:[1,0,0] neg_lo:[0,0,1] neg_hi:[0,0,1]
	v_pk_add_f16 v10, v13, v15 op_sel:[0,1] op_sel_hi:[1,0]
	v_pk_add_f16 v11, v13, v15 op_sel:[0,1] op_sel_hi:[1,0] neg_lo:[0,1] neg_hi:[0,1]
	s_delay_alu instid0(VALU_DEP_4) | instskip(NEXT) | instid1(VALU_DEP_4)
	v_pk_add_f16 v13, v16, v15 op_sel:[0,1] op_sel_hi:[1,0] neg_lo:[0,1] neg_hi:[0,1]
	v_pk_add_f16 v1, v1, v15 op_sel:[0,1] op_sel_hi:[1,0] neg_lo:[0,1] neg_hi:[0,1]
	s_delay_alu instid0(VALU_DEP_3) | instskip(NEXT) | instid1(VALU_DEP_2)
	v_bfi_b32 v10, 0xffff, v10, v11
	v_bfi_b32 v1, 0xffff, v13, v1
	ds_store_b32 v26, v10
	ds_store_b32 v18, v1 offset:7776
	ds_load_b32 v1, v25
	ds_load_b32 v10, v18 offset:7452
	global_load_b32 v11, v[8:9], off offset:3888
	s_wait_dscnt 0x0
	v_pk_add_f16 v13, v1, v10 neg_lo:[0,1] neg_hi:[0,1]
	v_pk_add_f16 v1, v1, v10
	s_delay_alu instid0(VALU_DEP_1) | instskip(SKIP_1) | instid1(VALU_DEP_2)
	v_bfi_b32 v10, 0xffff, v13, v1
	v_bfi_b32 v1, 0xffff, v1, v13
	v_pk_mul_f16 v10, v10, 0.5 op_sel_hi:[1,0]
	s_delay_alu instid0(VALU_DEP_2) | instskip(SKIP_1) | instid1(VALU_DEP_1)
	v_pk_mul_f16 v1, v1, 0.5 op_sel_hi:[1,0]
	s_wait_loadcnt 0x5
	v_pk_fma_f16 v13, v19, v10, v1 op_sel:[1,0,0]
	v_pk_mul_f16 v15, v19, v10 op_sel_hi:[0,1]
	v_pk_fma_f16 v16, v19, v10, v1 op_sel:[1,0,0] neg_lo:[1,0,0] neg_hi:[1,0,0]
	v_pk_fma_f16 v1, v19, v10, v1 op_sel:[1,0,0] neg_lo:[0,0,1] neg_hi:[0,0,1]
	s_delay_alu instid0(VALU_DEP_3) | instskip(SKIP_1) | instid1(VALU_DEP_4)
	v_pk_add_f16 v10, v13, v15 op_sel:[0,1] op_sel_hi:[1,0]
	v_pk_add_f16 v13, v13, v15 op_sel:[0,1] op_sel_hi:[1,0] neg_lo:[0,1] neg_hi:[0,1]
	v_pk_add_f16 v16, v16, v15 op_sel:[0,1] op_sel_hi:[1,0] neg_lo:[0,1] neg_hi:[0,1]
	s_delay_alu instid0(VALU_DEP_4) | instskip(NEXT) | instid1(VALU_DEP_3)
	v_pk_add_f16 v1, v1, v15 op_sel:[0,1] op_sel_hi:[1,0] neg_lo:[0,1] neg_hi:[0,1]
	v_bfi_b32 v10, 0xffff, v10, v13
	s_delay_alu instid0(VALU_DEP_2)
	v_bfi_b32 v1, 0xffff, v16, v1
	ds_store_b32 v25, v10
	ds_store_b32 v18, v1 offset:7452
	ds_load_b32 v1, v24
	ds_load_b32 v10, v18 offset:7128
	global_load_b32 v13, v[8:9], off offset:4212
	s_wait_dscnt 0x0
	v_pk_add_f16 v15, v1, v10 neg_lo:[0,1] neg_hi:[0,1]
	v_pk_add_f16 v1, v1, v10
	s_delay_alu instid0(VALU_DEP_1) | instskip(SKIP_1) | instid1(VALU_DEP_2)
	v_bfi_b32 v10, 0xffff, v15, v1
	v_bfi_b32 v1, 0xffff, v1, v15
	v_pk_mul_f16 v10, v10, 0.5 op_sel_hi:[1,0]
	s_delay_alu instid0(VALU_DEP_2) | instskip(SKIP_1) | instid1(VALU_DEP_1)
	v_pk_mul_f16 v1, v1, 0.5 op_sel_hi:[1,0]
	s_wait_loadcnt 0x5
	v_pk_fma_f16 v15, v14, v10, v1 op_sel:[1,0,0]
	v_pk_mul_f16 v16, v14, v10 op_sel_hi:[0,1]
	v_pk_fma_f16 v17, v14, v10, v1 op_sel:[1,0,0] neg_lo:[1,0,0] neg_hi:[1,0,0]
	v_pk_fma_f16 v1, v14, v10, v1 op_sel:[1,0,0] neg_lo:[0,0,1] neg_hi:[0,0,1]
	s_delay_alu instid0(VALU_DEP_3) | instskip(SKIP_1) | instid1(VALU_DEP_4)
	v_pk_add_f16 v10, v15, v16 op_sel:[0,1] op_sel_hi:[1,0]
	v_pk_add_f16 v14, v15, v16 op_sel:[0,1] op_sel_hi:[1,0] neg_lo:[0,1] neg_hi:[0,1]
	v_pk_add_f16 v15, v17, v16 op_sel:[0,1] op_sel_hi:[1,0] neg_lo:[0,1] neg_hi:[0,1]
	s_delay_alu instid0(VALU_DEP_4) | instskip(NEXT) | instid1(VALU_DEP_3)
	v_pk_add_f16 v1, v1, v16 op_sel:[0,1] op_sel_hi:[1,0] neg_lo:[0,1] neg_hi:[0,1]
	v_bfi_b32 v10, 0xffff, v10, v14
	s_delay_alu instid0(VALU_DEP_2)
	v_bfi_b32 v1, 0xffff, v15, v1
	ds_store_b32 v24, v10
	ds_store_b32 v18, v1 offset:7128
	ds_load_b32 v1, v30
	ds_load_b32 v10, v18 offset:6804
	global_load_b32 v8, v[8:9], off offset:4536
	s_wait_dscnt 0x0
	v_pk_add_f16 v9, v1, v10 neg_lo:[0,1] neg_hi:[0,1]
	v_pk_add_f16 v1, v1, v10
	s_delay_alu instid0(VALU_DEP_1) | instskip(SKIP_1) | instid1(VALU_DEP_2)
	v_bfi_b32 v10, 0xffff, v9, v1
	v_bfi_b32 v1, 0xffff, v1, v9
	v_pk_mul_f16 v9, v10, 0.5 op_sel_hi:[1,0]
	s_delay_alu instid0(VALU_DEP_2) | instskip(SKIP_1) | instid1(VALU_DEP_2)
	v_pk_mul_f16 v1, v1, 0.5 op_sel_hi:[1,0]
	s_wait_loadcnt 0x5
	v_pk_mul_f16 v14, v4, v9 op_sel_hi:[0,1]
	s_delay_alu instid0(VALU_DEP_2) | instskip(SKIP_2) | instid1(VALU_DEP_3)
	v_pk_fma_f16 v10, v4, v9, v1 op_sel:[1,0,0]
	v_pk_fma_f16 v15, v4, v9, v1 op_sel:[1,0,0] neg_lo:[1,0,0] neg_hi:[1,0,0]
	v_pk_fma_f16 v1, v4, v9, v1 op_sel:[1,0,0] neg_lo:[0,0,1] neg_hi:[0,0,1]
	v_pk_add_f16 v4, v10, v14 op_sel:[0,1] op_sel_hi:[1,0]
	v_pk_add_f16 v9, v10, v14 op_sel:[0,1] op_sel_hi:[1,0] neg_lo:[0,1] neg_hi:[0,1]
	s_delay_alu instid0(VALU_DEP_4) | instskip(NEXT) | instid1(VALU_DEP_4)
	v_pk_add_f16 v10, v15, v14 op_sel:[0,1] op_sel_hi:[1,0] neg_lo:[0,1] neg_hi:[0,1]
	v_pk_add_f16 v1, v1, v14 op_sel:[0,1] op_sel_hi:[1,0] neg_lo:[0,1] neg_hi:[0,1]
	s_delay_alu instid0(VALU_DEP_3) | instskip(NEXT) | instid1(VALU_DEP_2)
	v_bfi_b32 v4, 0xffff, v4, v9
	v_bfi_b32 v1, 0xffff, v10, v1
	ds_store_b32 v30, v4
	ds_store_b32 v18, v1 offset:6804
	ds_load_b32 v1, v44 offset:3240
	ds_load_b32 v4, v18 offset:6480
	s_wait_dscnt 0x0
	v_pk_add_f16 v9, v1, v4 neg_lo:[0,1] neg_hi:[0,1]
	v_pk_add_f16 v1, v1, v4
	s_delay_alu instid0(VALU_DEP_1) | instskip(SKIP_1) | instid1(VALU_DEP_2)
	v_bfi_b32 v4, 0xffff, v9, v1
	v_bfi_b32 v1, 0xffff, v1, v9
	v_pk_mul_f16 v4, v4, 0.5 op_sel_hi:[1,0]
	s_delay_alu instid0(VALU_DEP_2) | instskip(SKIP_1) | instid1(VALU_DEP_2)
	v_pk_mul_f16 v1, v1, 0.5 op_sel_hi:[1,0]
	s_wait_loadcnt 0x4
	v_pk_mul_f16 v10, v5, v4 op_sel_hi:[0,1]
	s_delay_alu instid0(VALU_DEP_2) | instskip(SKIP_2) | instid1(VALU_DEP_3)
	v_pk_fma_f16 v9, v5, v4, v1 op_sel:[1,0,0]
	v_pk_fma_f16 v14, v5, v4, v1 op_sel:[1,0,0] neg_lo:[1,0,0] neg_hi:[1,0,0]
	v_pk_fma_f16 v1, v5, v4, v1 op_sel:[1,0,0] neg_lo:[0,0,1] neg_hi:[0,0,1]
	v_pk_add_f16 v4, v9, v10 op_sel:[0,1] op_sel_hi:[1,0]
	v_pk_add_f16 v5, v9, v10 op_sel:[0,1] op_sel_hi:[1,0] neg_lo:[0,1] neg_hi:[0,1]
	s_delay_alu instid0(VALU_DEP_4) | instskip(NEXT) | instid1(VALU_DEP_4)
	v_pk_add_f16 v9, v14, v10 op_sel:[0,1] op_sel_hi:[1,0] neg_lo:[0,1] neg_hi:[0,1]
	v_pk_add_f16 v1, v1, v10 op_sel:[0,1] op_sel_hi:[1,0] neg_lo:[0,1] neg_hi:[0,1]
	s_delay_alu instid0(VALU_DEP_3) | instskip(NEXT) | instid1(VALU_DEP_2)
	v_bfi_b32 v4, 0xffff, v4, v5
	v_bfi_b32 v1, 0xffff, v9, v1
	ds_store_b32 v44, v4 offset:3240
	ds_store_b32 v18, v1 offset:6480
	ds_load_b32 v1, v44 offset:3564
	ds_load_b32 v4, v18 offset:6156
	s_wait_dscnt 0x0
	v_pk_add_f16 v5, v1, v4 neg_lo:[0,1] neg_hi:[0,1]
	v_pk_add_f16 v1, v1, v4
	s_delay_alu instid0(VALU_DEP_1) | instskip(SKIP_1) | instid1(VALU_DEP_2)
	v_bfi_b32 v4, 0xffff, v5, v1
	v_bfi_b32 v1, 0xffff, v1, v5
	v_pk_mul_f16 v4, v4, 0.5 op_sel_hi:[1,0]
	s_delay_alu instid0(VALU_DEP_2) | instskip(SKIP_1) | instid1(VALU_DEP_2)
	v_pk_mul_f16 v1, v1, 0.5 op_sel_hi:[1,0]
	s_wait_loadcnt 0x3
	v_pk_mul_f16 v9, v12, v4 op_sel_hi:[0,1]
	s_delay_alu instid0(VALU_DEP_2) | instskip(SKIP_2) | instid1(VALU_DEP_3)
	v_pk_fma_f16 v5, v12, v4, v1 op_sel:[1,0,0]
	v_pk_fma_f16 v10, v12, v4, v1 op_sel:[1,0,0] neg_lo:[1,0,0] neg_hi:[1,0,0]
	v_pk_fma_f16 v1, v12, v4, v1 op_sel:[1,0,0] neg_lo:[0,0,1] neg_hi:[0,0,1]
	v_pk_add_f16 v4, v5, v9 op_sel:[0,1] op_sel_hi:[1,0]
	v_pk_add_f16 v5, v5, v9 op_sel:[0,1] op_sel_hi:[1,0] neg_lo:[0,1] neg_hi:[0,1]
	s_delay_alu instid0(VALU_DEP_4) | instskip(NEXT) | instid1(VALU_DEP_4)
	v_pk_add_f16 v10, v10, v9 op_sel:[0,1] op_sel_hi:[1,0] neg_lo:[0,1] neg_hi:[0,1]
	v_pk_add_f16 v1, v1, v9 op_sel:[0,1] op_sel_hi:[1,0] neg_lo:[0,1] neg_hi:[0,1]
	s_delay_alu instid0(VALU_DEP_3) | instskip(NEXT) | instid1(VALU_DEP_2)
	v_bfi_b32 v4, 0xffff, v4, v5
	v_bfi_b32 v1, 0xffff, v10, v1
	ds_store_b32 v44, v4 offset:3564
	;; [unrolled: 27-line block ×3, first 2 shown]
	ds_store_b32 v18, v1 offset:5832
	ds_load_b32 v1, v44 offset:4212
	ds_load_b32 v4, v18 offset:5508
	s_wait_dscnt 0x0
	v_pk_add_f16 v5, v1, v4 neg_lo:[0,1] neg_hi:[0,1]
	v_pk_add_f16 v1, v1, v4
	s_delay_alu instid0(VALU_DEP_1) | instskip(SKIP_1) | instid1(VALU_DEP_2)
	v_bfi_b32 v4, 0xffff, v5, v1
	v_bfi_b32 v1, 0xffff, v1, v5
	v_pk_mul_f16 v4, v4, 0.5 op_sel_hi:[1,0]
	s_delay_alu instid0(VALU_DEP_2) | instskip(SKIP_1) | instid1(VALU_DEP_1)
	v_pk_mul_f16 v1, v1, 0.5 op_sel_hi:[1,0]
	s_wait_loadcnt 0x1
	v_pk_fma_f16 v5, v13, v4, v1 op_sel:[1,0,0]
	v_pk_mul_f16 v9, v13, v4 op_sel_hi:[0,1]
	v_pk_fma_f16 v10, v13, v4, v1 op_sel:[1,0,0] neg_lo:[1,0,0] neg_hi:[1,0,0]
	v_pk_fma_f16 v1, v13, v4, v1 op_sel:[1,0,0] neg_lo:[0,0,1] neg_hi:[0,0,1]
	s_delay_alu instid0(VALU_DEP_3) | instskip(SKIP_1) | instid1(VALU_DEP_4)
	v_pk_add_f16 v4, v5, v9 op_sel:[0,1] op_sel_hi:[1,0]
	v_pk_add_f16 v5, v5, v9 op_sel:[0,1] op_sel_hi:[1,0] neg_lo:[0,1] neg_hi:[0,1]
	v_pk_add_f16 v10, v10, v9 op_sel:[0,1] op_sel_hi:[1,0] neg_lo:[0,1] neg_hi:[0,1]
	s_delay_alu instid0(VALU_DEP_4) | instskip(NEXT) | instid1(VALU_DEP_3)
	v_pk_add_f16 v1, v1, v9 op_sel:[0,1] op_sel_hi:[1,0] neg_lo:[0,1] neg_hi:[0,1]
	v_bfi_b32 v4, 0xffff, v4, v5
	s_delay_alu instid0(VALU_DEP_2)
	v_bfi_b32 v1, 0xffff, v10, v1
	ds_store_b32 v44, v4 offset:4212
	ds_store_b32 v18, v1 offset:5508
	ds_load_b32 v1, v44 offset:4536
	ds_load_b32 v4, v18 offset:5184
	s_wait_dscnt 0x0
	v_pk_add_f16 v5, v1, v4 neg_lo:[0,1] neg_hi:[0,1]
	v_pk_add_f16 v1, v1, v4
	s_delay_alu instid0(VALU_DEP_1) | instskip(SKIP_1) | instid1(VALU_DEP_2)
	v_bfi_b32 v4, 0xffff, v5, v1
	v_bfi_b32 v1, 0xffff, v1, v5
	v_pk_mul_f16 v4, v4, 0.5 op_sel_hi:[1,0]
	s_delay_alu instid0(VALU_DEP_2) | instskip(SKIP_1) | instid1(VALU_DEP_1)
	v_pk_mul_f16 v1, v1, 0.5 op_sel_hi:[1,0]
	s_wait_loadcnt 0x0
	v_pk_fma_f16 v5, v8, v4, v1 op_sel:[1,0,0]
	v_pk_mul_f16 v9, v8, v4 op_sel_hi:[0,1]
	v_pk_fma_f16 v10, v8, v4, v1 op_sel:[1,0,0] neg_lo:[1,0,0] neg_hi:[1,0,0]
	v_pk_fma_f16 v1, v8, v4, v1 op_sel:[1,0,0] neg_lo:[0,0,1] neg_hi:[0,0,1]
	s_delay_alu instid0(VALU_DEP_3) | instskip(SKIP_1) | instid1(VALU_DEP_4)
	v_pk_add_f16 v4, v5, v9 op_sel:[0,1] op_sel_hi:[1,0]
	v_pk_add_f16 v5, v5, v9 op_sel:[0,1] op_sel_hi:[1,0] neg_lo:[0,1] neg_hi:[0,1]
	v_pk_add_f16 v8, v10, v9 op_sel:[0,1] op_sel_hi:[1,0] neg_lo:[0,1] neg_hi:[0,1]
	s_delay_alu instid0(VALU_DEP_4) | instskip(NEXT) | instid1(VALU_DEP_3)
	v_pk_add_f16 v1, v1, v9 op_sel:[0,1] op_sel_hi:[1,0] neg_lo:[0,1] neg_hi:[0,1]
	v_bfi_b32 v4, 0xffff, v4, v5
	s_delay_alu instid0(VALU_DEP_2)
	v_bfi_b32 v1, 0xffff, v8, v1
	ds_store_b32 v44, v4 offset:4536
	ds_store_b32 v18, v1 offset:5184
	global_wb scope:SCOPE_SE
	s_wait_dscnt 0x0
	s_barrier_signal -1
	s_barrier_wait -1
	global_inv scope:SCOPE_SE
	s_and_saveexec_b32 s0, vcc_lo
	s_cbranch_execz .LBB0_20
; %bb.18:
	v_add_co_u32 v1, vcc_lo, s8, v2
	s_wait_alu 0xfffd
	v_add_co_ci_u32_e32 v2, vcc_lo, s9, v3, vcc_lo
	v_add_nc_u32_e32 v9, 0x400, v44
	v_add_nc_u32_e32 v11, 0x600, v44
	ds_load_2addr_b32 v[3:4], v44 offset1:81
	v_add_co_u32 v5, vcc_lo, v1, v6
	v_add_nc_u32_e32 v13, 0x800, v44
	v_add_nc_u32_e32 v15, 0xc00, v44
	s_wait_alu 0xfffd
	v_add_co_ci_u32_e32 v6, vcc_lo, v2, v7, vcc_lo
	ds_load_2addr_b32 v[7:8], v44 offset0:162 offset1:243
	v_add_nc_u32_e32 v17, 0xe00, v44
	ds_load_2addr_b32 v[9:10], v9 offset0:68 offset1:149
	ds_load_2addr_b32 v[11:12], v11 offset0:102 offset1:183
	;; [unrolled: 1-line block ×5, first 2 shown]
	v_add_nc_u32_e32 v19, 0x1000, v44
	v_add_nc_u32_e32 v21, 0x1400, v44
	;; [unrolled: 1-line block ×8, first 2 shown]
	ds_load_2addr_b32 v[19:20], v19 offset0:110 offset1:191
	ds_load_2addr_b32 v[21:22], v21 offset0:16 offset1:97
	;; [unrolled: 1-line block ×5, first 2 shown]
	s_wait_dscnt 0xb
	s_clause 0x1
	global_store_b32 v[5:6], v3, off
	global_store_b32 v[5:6], v4, off offset:324
	s_wait_dscnt 0xa
	s_clause 0x1
	global_store_b32 v[5:6], v7, off offset:648
	global_store_b32 v[5:6], v8, off offset:972
	s_wait_dscnt 0x9
	s_clause 0x1
	global_store_b32 v[5:6], v9, off offset:1296
	;; [unrolled: 4-line block ×3, first 2 shown]
	global_store_b32 v[5:6], v12, off offset:2268
	ds_load_2addr_b32 v[3:4], v29 offset0:152 offset1:233
	ds_load_2addr_b32 v[7:8], v30 offset0:58 offset1:139
	;; [unrolled: 1-line block ×3, first 2 shown]
	v_cmp_eq_u32_e32 vcc_lo, 0x50, v0
	s_wait_dscnt 0xa
	s_clause 0x1
	global_store_b32 v[5:6], v13, off offset:2592
	global_store_b32 v[5:6], v14, off offset:2916
	s_wait_dscnt 0x9
	s_clause 0x1
	global_store_b32 v[5:6], v15, off offset:3240
	global_store_b32 v[5:6], v16, off offset:3564
	;; [unrolled: 4-line block ×11, first 2 shown]
	s_and_b32 exec_lo, exec_lo, vcc_lo
	s_cbranch_execz .LBB0_20
; %bb.19:
	v_mov_b32_e32 v0, 0
	ds_load_b32 v0, v0 offset:9720
	s_wait_dscnt 0x0
	global_store_b32 v[1:2], v0, off offset:9720
.LBB0_20:
	s_nop 0
	s_sendmsg sendmsg(MSG_DEALLOC_VGPRS)
	s_endpgm
	.section	.rodata,"a",@progbits
	.p2align	6, 0x0
	.amdhsa_kernel fft_rtc_fwd_len2430_factors_10_3_3_3_3_3_wgs_81_tpt_81_halfLds_half_ip_CI_unitstride_sbrr_R2C_dirReg
		.amdhsa_group_segment_fixed_size 0
		.amdhsa_private_segment_fixed_size 0
		.amdhsa_kernarg_size 88
		.amdhsa_user_sgpr_count 2
		.amdhsa_user_sgpr_dispatch_ptr 0
		.amdhsa_user_sgpr_queue_ptr 0
		.amdhsa_user_sgpr_kernarg_segment_ptr 1
		.amdhsa_user_sgpr_dispatch_id 0
		.amdhsa_user_sgpr_private_segment_size 0
		.amdhsa_wavefront_size32 1
		.amdhsa_uses_dynamic_stack 0
		.amdhsa_enable_private_segment 0
		.amdhsa_system_sgpr_workgroup_id_x 1
		.amdhsa_system_sgpr_workgroup_id_y 0
		.amdhsa_system_sgpr_workgroup_id_z 0
		.amdhsa_system_sgpr_workgroup_info 0
		.amdhsa_system_vgpr_workitem_id 0
		.amdhsa_next_free_vgpr 115
		.amdhsa_next_free_sgpr 32
		.amdhsa_reserve_vcc 1
		.amdhsa_float_round_mode_32 0
		.amdhsa_float_round_mode_16_64 0
		.amdhsa_float_denorm_mode_32 3
		.amdhsa_float_denorm_mode_16_64 3
		.amdhsa_fp16_overflow 0
		.amdhsa_workgroup_processor_mode 1
		.amdhsa_memory_ordered 1
		.amdhsa_forward_progress 0
		.amdhsa_round_robin_scheduling 0
		.amdhsa_exception_fp_ieee_invalid_op 0
		.amdhsa_exception_fp_denorm_src 0
		.amdhsa_exception_fp_ieee_div_zero 0
		.amdhsa_exception_fp_ieee_overflow 0
		.amdhsa_exception_fp_ieee_underflow 0
		.amdhsa_exception_fp_ieee_inexact 0
		.amdhsa_exception_int_div_zero 0
	.end_amdhsa_kernel
	.text
.Lfunc_end0:
	.size	fft_rtc_fwd_len2430_factors_10_3_3_3_3_3_wgs_81_tpt_81_halfLds_half_ip_CI_unitstride_sbrr_R2C_dirReg, .Lfunc_end0-fft_rtc_fwd_len2430_factors_10_3_3_3_3_3_wgs_81_tpt_81_halfLds_half_ip_CI_unitstride_sbrr_R2C_dirReg
                                        ; -- End function
	.section	.AMDGPU.csdata,"",@progbits
; Kernel info:
; codeLenInByte = 24284
; NumSgprs: 34
; NumVgprs: 115
; ScratchSize: 0
; MemoryBound: 0
; FloatMode: 240
; IeeeMode: 1
; LDSByteSize: 0 bytes/workgroup (compile time only)
; SGPRBlocks: 4
; VGPRBlocks: 14
; NumSGPRsForWavesPerEU: 34
; NumVGPRsForWavesPerEU: 115
; Occupancy: 12
; WaveLimiterHint : 1
; COMPUTE_PGM_RSRC2:SCRATCH_EN: 0
; COMPUTE_PGM_RSRC2:USER_SGPR: 2
; COMPUTE_PGM_RSRC2:TRAP_HANDLER: 0
; COMPUTE_PGM_RSRC2:TGID_X_EN: 1
; COMPUTE_PGM_RSRC2:TGID_Y_EN: 0
; COMPUTE_PGM_RSRC2:TGID_Z_EN: 0
; COMPUTE_PGM_RSRC2:TIDIG_COMP_CNT: 0
	.text
	.p2alignl 7, 3214868480
	.fill 96, 4, 3214868480
	.type	__hip_cuid_307cfbbfe6fbf6ae,@object ; @__hip_cuid_307cfbbfe6fbf6ae
	.section	.bss,"aw",@nobits
	.globl	__hip_cuid_307cfbbfe6fbf6ae
__hip_cuid_307cfbbfe6fbf6ae:
	.byte	0                               ; 0x0
	.size	__hip_cuid_307cfbbfe6fbf6ae, 1

	.ident	"AMD clang version 19.0.0git (https://github.com/RadeonOpenCompute/llvm-project roc-6.4.0 25133 c7fe45cf4b819c5991fe208aaa96edf142730f1d)"
	.section	".note.GNU-stack","",@progbits
	.addrsig
	.addrsig_sym __hip_cuid_307cfbbfe6fbf6ae
	.amdgpu_metadata
---
amdhsa.kernels:
  - .args:
      - .actual_access:  read_only
        .address_space:  global
        .offset:         0
        .size:           8
        .value_kind:     global_buffer
      - .offset:         8
        .size:           8
        .value_kind:     by_value
      - .actual_access:  read_only
        .address_space:  global
        .offset:         16
        .size:           8
        .value_kind:     global_buffer
      - .actual_access:  read_only
        .address_space:  global
        .offset:         24
        .size:           8
        .value_kind:     global_buffer
      - .offset:         32
        .size:           8
        .value_kind:     by_value
      - .actual_access:  read_only
        .address_space:  global
        .offset:         40
        .size:           8
        .value_kind:     global_buffer
      - .actual_access:  read_only
        .address_space:  global
        .offset:         48
        .size:           8
        .value_kind:     global_buffer
      - .offset:         56
        .size:           4
        .value_kind:     by_value
      - .actual_access:  read_only
        .address_space:  global
        .offset:         64
        .size:           8
        .value_kind:     global_buffer
      - .actual_access:  read_only
        .address_space:  global
        .offset:         72
        .size:           8
        .value_kind:     global_buffer
      - .address_space:  global
        .offset:         80
        .size:           8
        .value_kind:     global_buffer
    .group_segment_fixed_size: 0
    .kernarg_segment_align: 8
    .kernarg_segment_size: 88
    .language:       OpenCL C
    .language_version:
      - 2
      - 0
    .max_flat_workgroup_size: 81
    .name:           fft_rtc_fwd_len2430_factors_10_3_3_3_3_3_wgs_81_tpt_81_halfLds_half_ip_CI_unitstride_sbrr_R2C_dirReg
    .private_segment_fixed_size: 0
    .sgpr_count:     34
    .sgpr_spill_count: 0
    .symbol:         fft_rtc_fwd_len2430_factors_10_3_3_3_3_3_wgs_81_tpt_81_halfLds_half_ip_CI_unitstride_sbrr_R2C_dirReg.kd
    .uniform_work_group_size: 1
    .uses_dynamic_stack: false
    .vgpr_count:     115
    .vgpr_spill_count: 0
    .wavefront_size: 32
    .workgroup_processor_mode: 1
amdhsa.target:   amdgcn-amd-amdhsa--gfx1201
amdhsa.version:
  - 1
  - 2
...

	.end_amdgpu_metadata
